;; amdgpu-corpus repo=ROCm/rocFFT kind=compiled arch=gfx950 opt=O3
	.text
	.amdgcn_target "amdgcn-amd-amdhsa--gfx950"
	.amdhsa_code_object_version 6
	.protected	bluestein_single_back_len1400_dim1_dp_op_CI_CI ; -- Begin function bluestein_single_back_len1400_dim1_dp_op_CI_CI
	.globl	bluestein_single_back_len1400_dim1_dp_op_CI_CI
	.p2align	8
	.type	bluestein_single_back_len1400_dim1_dp_op_CI_CI,@function
bluestein_single_back_len1400_dim1_dp_op_CI_CI: ; @bluestein_single_back_len1400_dim1_dp_op_CI_CI
; %bb.0:
	s_load_dwordx4 s[4:7], s[0:1], 0x28
	v_mul_u32_u24_e32 v1, 0x493, v0
	v_mov_b32_e32 v215, 0
	v_add_u32_sdwa v6, s2, v1 dst_sel:DWORD dst_unused:UNUSED_PAD src0_sel:DWORD src1_sel:WORD_1
	v_mov_b32_e32 v7, v215
	s_waitcnt lgkmcnt(0)
	v_cmp_gt_u64_e32 vcc, s[4:5], v[6:7]
	s_and_saveexec_b64 s[2:3], vcc
	s_cbranch_execz .LBB0_39
; %bb.1:
	s_load_dwordx4 s[12:15], s[0:1], 0x18
	s_load_dwordx2 s[16:17], s[0:1], 0x0
	v_mov_b32_e32 v2, s6
	v_mov_b32_e32 v3, s7
	;; [unrolled: 1-line block ×3, first 2 shown]
	s_waitcnt lgkmcnt(0)
	s_load_dwordx4 s[4:7], s[12:13], 0x0
	v_mul_lo_u16_sdwa v1, v1, v4 dst_sel:DWORD dst_unused:UNUSED_PAD src0_sel:WORD_1 src1_sel:DWORD
	v_sub_u16_e32 v214, v0, v1
	v_accvgpr_write_b32 a20, v6
	v_lshlrev_b32_e32 v168, 4, v214
	s_waitcnt lgkmcnt(0)
	v_mad_u64_u32 v[0:1], s[2:3], s6, v6, 0
	v_mov_b32_e32 v4, v1
	v_mad_u64_u32 v[4:5], s[2:3], s7, v6, v[4:5]
	v_mov_b32_e32 v1, v4
	v_mad_u64_u32 v[4:5], s[2:3], s4, v214, 0
	v_mov_b32_e32 v6, v5
	v_mad_u64_u32 v[6:7], s[2:3], s5, v214, v[6:7]
	v_mov_b32_e32 v169, v215
	v_lshl_add_u64 v[78:79], s[16:17], 0, v[168:169]
	s_mul_i32 s2, s5, 0x2bc
	s_mul_hi_u32 s3, s4, 0x2bc
	s_movk_i32 s6, 0x2000
	s_mul_hi_u32 s7, s4, 0xfffffd7c
	v_mov_b32_e32 v5, v6
	v_lshl_add_u64 v[46:47], v[0:1], 4, v[2:3]
	s_add_i32 s3, s3, s2
	s_mul_i32 s2, s4, 0x2bc
	v_add_co_u32_e32 v44, vcc, s6, v78
	s_mul_i32 s6, s5, 0xfffffd7c
	s_sub_i32 s7, s7, s4
	v_lshl_add_u64 v[0:1], v[4:5], 4, v[46:47]
	s_lshl_b64 s[18:19], s[2:3], 4
	v_addc_co_u32_e32 v45, vcc, 0, v79, vcc
	s_add_i32 s13, s7, s6
	s_mul_i32 s12, s4, 0xfffffd7c
	v_lshl_add_u64 v[2:3], v[0:1], 0, s[18:19]
	global_load_dwordx4 v[8:11], v[0:1], off
	global_load_dwordx4 v[12:15], v[2:3], off
	global_load_dwordx4 v[40:43], v[44:45], off offset:3008
	global_load_dwordx4 v[74:77], v168, s[16:17]
	s_lshl_b64 s[20:21], s[12:13], 4
	v_lshl_add_u64 v[0:1], v[2:3], 0, s[20:21]
	global_load_dwordx4 v[60:63], v168, s[16:17] offset:896
	global_load_dwordx4 v[16:19], v[0:1], off
	v_lshl_add_u64 v[0:1], v[0:1], 0, s[18:19]
	global_load_dwordx4 v[24:27], v[0:1], off
	global_load_dwordx4 v[70:73], v[44:45], off offset:3904
	v_lshl_add_u64 v[0:1], v[0:1], 0, s[20:21]
	s_movk_i32 s6, 0x3000
	global_load_dwordx4 v[28:31], v[0:1], off
	global_load_dwordx4 v[52:55], v168, s[16:17] offset:1792
	v_add_co_u32_e32 v48, vcc, s6, v78
	v_lshl_add_u64 v[0:1], v[0:1], 0, s[18:19]
	s_nop 0
	v_addc_co_u32_e32 v49, vcc, 0, v79, vcc
	global_load_dwordx4 v[56:59], v[48:49], off offset:704
	global_load_dwordx4 v[32:35], v[0:1], off
	v_lshl_add_u64 v[0:1], v[0:1], 0, s[20:21]
	s_load_dwordx2 s[6:7], s[0:1], 0x38
	s_load_dwordx4 s[8:11], s[14:15], 0x0
	global_load_dwordx4 v[66:69], v168, s[16:17] offset:2688
	global_load_dwordx4 v[80:83], v168, s[16:17] offset:3584
	global_load_dwordx4 v[120:123], v[48:49], off offset:1600
	global_load_dwordx4 v[20:23], v[0:1], off
	v_lshl_add_u64 v[0:1], v[0:1], 0, s[18:19]
	global_load_dwordx4 v[4:7], v[0:1], off
	v_lshl_add_u64 v[50:51], v[0:1], 0, s[20:21]
	global_load_dwordx4 v[0:3], v[50:51], off
	s_movk_i32 s14, 0x1000
	v_or_b32_e32 v110, 0x1c0, v214
	v_accvgpr_write_b32 a0, v78
	v_accvgpr_write_b32 a1, v79
	s_waitcnt vmcnt(15)
	v_accvgpr_write_b32 a2, v40
	s_waitcnt vmcnt(14)
	v_mul_f64 v[36:37], v[10:11], v[76:77]
	v_mul_f64 v[38:39], v[8:9], v[76:77]
	v_fmac_f64_e32 v[36:37], v[8:9], v[74:75]
	v_fma_f64 v[38:39], v[10:11], v[74:75], -v[38:39]
	v_mul_f64 v[8:9], v[14:15], v[42:43]
	v_mul_f64 v[10:11], v[12:13], v[42:43]
	v_fmac_f64_e32 v[8:9], v[12:13], v[40:41]
	v_fma_f64 v[10:11], v[14:15], v[40:41], -v[10:11]
	s_waitcnt vmcnt(12)
	v_mul_f64 v[12:13], v[18:19], v[62:63]
	v_mul_f64 v[14:15], v[16:17], v[62:63]
	v_fmac_f64_e32 v[12:13], v[16:17], v[60:61]
	v_fma_f64 v[14:15], v[18:19], v[60:61], -v[14:15]
	ds_write_b128 v168, v[8:11] offset:11200
	s_waitcnt vmcnt(10)
	v_mul_f64 v[8:9], v[26:27], v[72:73]
	v_mul_f64 v[10:11], v[24:25], v[72:73]
	ds_write_b128 v168, v[12:15] offset:896
	s_waitcnt vmcnt(8)
	v_mul_f64 v[12:13], v[30:31], v[54:55]
	v_mul_f64 v[14:15], v[28:29], v[54:55]
	v_fmac_f64_e32 v[8:9], v[24:25], v[70:71]
	v_fma_f64 v[10:11], v[26:27], v[70:71], -v[10:11]
	v_fmac_f64_e32 v[12:13], v[28:29], v[52:53]
	v_fma_f64 v[14:15], v[30:31], v[52:53], -v[14:15]
	ds_write_b128 v168, v[36:39]
	ds_write_b128 v168, v[8:11] offset:12096
	s_waitcnt vmcnt(6)
	v_mul_f64 v[8:9], v[32:33], v[58:59]
	ds_write_b128 v168, v[12:15] offset:1792
	v_lshl_add_u64 v[12:13], v[50:51], 0, s[18:19]
	v_accvgpr_write_b32 a3, v41
	v_accvgpr_write_b32 a4, v42
	v_accvgpr_write_b32 a5, v43
	v_accvgpr_write_b32 a10, v56
	v_fma_f64 v[42:43], v[34:35], v[56:57], -v[8:9]
	global_load_dwordx4 v[8:11], v[12:13], off
	global_load_dwordx4 v[96:99], v[48:49], off offset:2496
	v_lshl_add_u64 v[16:17], v[12:13], 0, s[20:21]
	v_mul_f64 v[40:41], v[34:35], v[58:59]
	v_accvgpr_write_b32 a11, v57
	v_accvgpr_write_b32 a12, v58
	;; [unrolled: 1-line block ×3, first 2 shown]
	v_add_co_u32_e32 v58, vcc, s14, v78
	v_lshl_add_u64 v[24:25], v[16:17], 0, s[18:19]
	global_load_dwordx4 v[12:15], v[16:17], off
	v_addc_co_u32_e32 v59, vcc, 0, v79, vcc
	global_load_dwordx4 v[16:19], v[24:25], off
	global_load_dwordx4 v[132:135], v[48:49], off offset:3392
	global_load_dwordx4 v[140:143], v[58:59], off offset:384
	v_lshl_add_u64 v[28:29], v[24:25], 0, s[20:21]
	v_fmac_f64_e32 v[40:41], v[32:33], v[56:57]
	global_load_dwordx4 v[24:27], v[28:29], off
	global_load_dwordx4 v[104:107], v[58:59], off offset:1280
	v_lshl_add_u64 v[32:33], v[28:29], 0, s[18:19]
	s_movk_i32 s14, 0x4000
	v_lshl_add_u64 v[36:37], v[32:33], 0, s[20:21]
	global_load_dwordx4 v[28:31], v[32:33], off
	v_add_co_u32_e32 v64, vcc, s14, v78
	v_lshl_add_u64 v[50:51], v[36:37], 0, s[18:19]
	v_accvgpr_write_b32 a6, v52
	v_addc_co_u32_e32 v65, vcc, 0, v79, vcc
	global_load_dwordx4 v[32:35], v[36:37], off
	s_nop 0
	global_load_dwordx4 v[36:39], v[50:51], off
	global_load_dwordx4 v[144:147], v[64:65], off offset:192
	global_load_dwordx4 v[136:139], v[64:65], off offset:1088
	v_mad_u64_u32 v[48:49], s[14:15], s4, v110, 0
	v_accvgpr_write_b32 a7, v53
	v_accvgpr_write_b32 a8, v54
	;; [unrolled: 1-line block ×3, first 2 shown]
	global_load_dwordx4 v[148:151], v[58:59], off offset:2176
	v_mov_b32_e32 v52, v49
	v_mad_u64_u32 v[52:53], s[14:15], s5, v110, v[52:53]
	v_mov_b32_e32 v49, v52
	v_lshlrev_b32_e32 v52, 4, v110
	v_lshl_add_u64 v[46:47], v[48:49], 4, v[46:47]
	v_accvgpr_write_b32 a102, v52
	global_load_dwordx4 v[100:103], v52, s[16:17]
	v_mov_b32_e32 v52, 0x380
	global_load_dwordx4 v[46:49], v[46:47], off
	v_mad_u64_u32 v[54:55], s[14:15], s4, v52, v[50:51]
	s_mul_i32 s4, s5, 0x380
	v_add_u32_e32 v55, s4, v55
	global_load_dwordx4 v[50:53], v[54:55], off
	global_load_dwordx4 v[92:95], v[64:65], off offset:1984
	ds_write_b128 v168, v[40:43] offset:12992
	v_lshl_add_u64 v[42:43], v[54:55], 0, s[20:21]
	v_accvgpr_write_b32 a26, v60
	s_waitcnt vmcnt(20)
	v_mul_f64 v[40:41], v[22:23], v[68:69]
	global_load_dwordx4 v[54:57], v[42:43], off
	global_load_dwordx4 v[116:119], v[58:59], off offset:3968
	v_accvgpr_write_b32 a27, v61
	v_accvgpr_write_b32 a28, v62
	v_accvgpr_write_b32 a29, v63
	v_fmac_f64_e32 v[40:41], v[20:21], v[66:67]
	v_mul_f64 v[20:21], v[20:21], v[68:69]
	v_lshl_add_u64 v[62:63], v[42:43], 0, s[18:19]
	global_load_dwordx4 v[58:61], v[62:63], off
	global_load_dwordx4 v[124:127], v[64:65], off offset:2880
	v_fma_f64 v[42:43], v[22:23], v[66:67], -v[20:21]
	ds_write_b128 v168, v[40:43] offset:2688
	v_lshl_add_u64 v[20:21], v[62:63], 0, s[20:21]
	global_load_dwordx4 v[40:43], v[20:21], off
	global_load_dwordx4 v[88:91], v[44:45], off offset:768
	v_accvgpr_write_b32 a22, v66
	v_lshl_add_u64 v[20:21], v[20:21], 0, s[18:19]
	v_accvgpr_write_b32 a23, v67
	v_accvgpr_write_b32 a24, v68
	;; [unrolled: 1-line block ×3, first 2 shown]
	global_load_dwordx4 v[66:69], v[20:21], off
	global_load_dwordx4 v[84:87], v[64:65], off offset:3776
	v_accvgpr_write_b32 a42, v70
	v_lshl_add_u64 v[20:21], v[20:21], 0, s[20:21]
	s_movk_i32 s4, 0x5000
	v_accvgpr_write_b32 a43, v71
	v_accvgpr_write_b32 a44, v72
	;; [unrolled: 1-line block ×3, first 2 shown]
	global_load_dwordx4 v[70:73], v[20:21], off
	global_load_dwordx4 v[112:115], v[44:45], off offset:1664
	v_lshl_add_u64 v[22:23], v[20:21], 0, s[18:19]
	v_add_co_u32_e32 v20, vcc, s4, v78
	v_accvgpr_write_b32 a58, v74
	s_nop 0
	v_addc_co_u32_e32 v21, vcc, 0, v79, vcc
	v_accvgpr_write_b32 a59, v75
	v_accvgpr_write_b32 a60, v76
	;; [unrolled: 1-line block ×3, first 2 shown]
	global_load_dwordx4 v[74:77], v[22:23], off
	global_load_dwordx4 v[128:131], v[20:21], off offset:576
	s_waitcnt vmcnt(31)
	v_mul_f64 v[62:63], v[6:7], v[122:123]
	v_fmac_f64_e32 v[62:63], v[4:5], v[120:121]
	v_mul_f64 v[4:5], v[4:5], v[122:123]
	v_fma_f64 v[64:65], v[6:7], v[120:121], -v[4:5]
	s_waitcnt vmcnt(30)
	v_mul_f64 v[4:5], v[2:3], v[82:83]
	v_fmac_f64_e32 v[4:5], v[0:1], v[80:81]
	v_mul_f64 v[0:1], v[0:1], v[82:83]
	v_fma_f64 v[6:7], v[2:3], v[80:81], -v[0:1]
	s_waitcnt vmcnt(28)
	v_mul_f64 v[0:1], v[10:11], v[98:99]
	v_mul_f64 v[2:3], v[8:9], v[98:99]
	v_fmac_f64_e32 v[0:1], v[8:9], v[96:97]
	v_fma_f64 v[2:3], v[10:11], v[96:97], -v[2:3]
	ds_write_b128 v168, v[0:3] offset:14784
	s_waitcnt vmcnt(24)
	v_mul_f64 v[0:1], v[14:15], v[142:143]
	v_mul_f64 v[2:3], v[12:13], v[142:143]
	v_fmac_f64_e32 v[0:1], v[12:13], v[140:141]
	v_fma_f64 v[2:3], v[14:15], v[140:141], -v[2:3]
	ds_write_b128 v168, v[0:3] offset:4480
	v_mul_f64 v[0:1], v[18:19], v[134:135]
	v_mul_f64 v[2:3], v[16:17], v[134:135]
	v_fmac_f64_e32 v[0:1], v[16:17], v[132:133]
	v_fma_f64 v[2:3], v[18:19], v[132:133], -v[2:3]
	ds_write_b128 v168, v[0:3] offset:15680
	s_waitcnt vmcnt(22)
	v_mul_f64 v[0:1], v[26:27], v[106:107]
	v_mul_f64 v[2:3], v[24:25], v[106:107]
	v_fmac_f64_e32 v[0:1], v[24:25], v[104:105]
	v_fma_f64 v[2:3], v[26:27], v[104:105], -v[2:3]
	ds_write_b128 v168, v[0:3] offset:5376
	s_waitcnt vmcnt(18)
	;; [unrolled: 6-line block ×3, first 2 shown]
	v_mul_f64 v[0:1], v[34:35], v[150:151]
	v_mul_f64 v[2:3], v[32:33], v[150:151]
	v_fmac_f64_e32 v[0:1], v[32:33], v[148:149]
	v_fma_f64 v[2:3], v[34:35], v[148:149], -v[2:3]
	ds_write_b128 v168, v[0:3] offset:6272
	v_mul_f64 v[0:1], v[38:39], v[138:139]
	v_mul_f64 v[2:3], v[36:37], v[138:139]
	v_fmac_f64_e32 v[0:1], v[36:37], v[136:137]
	v_fma_f64 v[2:3], v[38:39], v[136:137], -v[2:3]
	ds_write_b128 v168, v[0:3] offset:17472
	s_waitcnt vmcnt(14)
	v_mul_f64 v[0:1], v[48:49], v[102:103]
	v_mul_f64 v[2:3], v[46:47], v[102:103]
	v_fmac_f64_e32 v[0:1], v[46:47], v[100:101]
	v_fma_f64 v[2:3], v[48:49], v[100:101], -v[2:3]
	ds_write_b128 v168, v[0:3] offset:7168
	s_waitcnt vmcnt(12)
	;; [unrolled: 6-line block ×7, first 2 shown]
	v_mul_f64 v[0:1], v[72:73], v[114:115]
	v_mul_f64 v[2:3], v[70:71], v[114:115]
	v_fmac_f64_e32 v[0:1], v[70:71], v[112:113]
	v_fma_f64 v[2:3], v[72:73], v[112:113], -v[2:3]
	v_accvgpr_write_b32 a70, v120
	v_accvgpr_write_b32 a14, v80
	;; [unrolled: 1-line block ×16, first 2 shown]
	ds_write_b128 v168, v[0:3] offset:9856
	s_waitcnt vmcnt(0)
	v_mul_f64 v[0:1], v[76:77], v[130:131]
	v_mul_f64 v[2:3], v[74:75], v[130:131]
	v_accvgpr_write_b32 a78, v128
	v_accvgpr_write_b32 a71, v121
	;; [unrolled: 1-line block ×49, first 2 shown]
	v_fmac_f64_e32 v[0:1], v[74:75], v[128:129]
	v_accvgpr_write_b32 a79, v129
	v_accvgpr_write_b32 a80, v130
	v_accvgpr_write_b32 a81, v131
	v_fma_f64 v[2:3], v[76:77], v[128:129], -v[2:3]
	v_cmp_gt_u16_e64 s[4:5], 28, v214
	ds_write_b128 v168, v[62:65] offset:13888
	ds_write_b128 v168, v[4:7] offset:3584
	;; [unrolled: 1-line block ×3, first 2 shown]
	s_and_saveexec_b64 s[14:15], s[4:5]
	s_cbranch_execz .LBB0_3
; %bb.2:
	v_accvgpr_read_b32 v5, a1
	v_accvgpr_read_b32 v4, a0
	v_add_co_u32_e32 v4, vcc, 0x2000, v4
	v_lshl_add_u64 v[8:9], s[12:13], 4, v[22:23]
	s_nop 0
	v_addc_co_u32_e32 v5, vcc, 0, v5, vcc
	global_load_dwordx4 v[0:3], v[8:9], off
	v_lshl_add_u64 v[16:17], s[2:3], 4, v[8:9]
	global_load_dwordx4 v[4:7], v[4:5], off offset:2560
	s_nop 0
	global_load_dwordx4 v[8:11], v[20:21], off offset:1472
	global_load_dwordx4 v[12:15], v[16:17], off
	s_waitcnt vmcnt(2)
	v_mul_f64 v[16:17], v[2:3], v[6:7]
	v_mul_f64 v[18:19], v[0:1], v[6:7]
	s_waitcnt vmcnt(0)
	v_mul_f64 v[6:7], v[14:15], v[10:11]
	v_mul_f64 v[10:11], v[12:13], v[10:11]
	v_fmac_f64_e32 v[16:17], v[0:1], v[4:5]
	v_fma_f64 v[18:19], v[2:3], v[4:5], -v[18:19]
	v_fmac_f64_e32 v[6:7], v[12:13], v[8:9]
	v_fma_f64 v[8:9], v[14:15], v[8:9], -v[10:11]
	ds_write_b128 v168, v[16:19] offset:10752
	ds_write_b128 v168, v[6:9] offset:21952
.LBB0_3:
	s_or_b64 exec, exec, s[14:15]
	s_waitcnt lgkmcnt(0)
	; wave barrier
	s_waitcnt lgkmcnt(0)
	ds_read_b128 v[96:99], v168
	ds_read_b128 v[84:87], v168 offset:896
	ds_read_b128 v[100:103], v168 offset:11200
	ds_read_b128 v[92:95], v168 offset:12096
	ds_read_b128 v[80:83], v168 offset:1792
	ds_read_b128 v[68:71], v168 offset:2688
	ds_read_b128 v[88:91], v168 offset:12992
	ds_read_b128 v[76:79], v168 offset:13888
	ds_read_b128 v[64:67], v168 offset:3584
	ds_read_b128 v[52:55], v168 offset:4480
	ds_read_b128 v[72:75], v168 offset:14784
	ds_read_b128 v[60:63], v168 offset:15680
	ds_read_b128 v[48:51], v168 offset:5376
	ds_read_b128 v[36:39], v168 offset:6272
	ds_read_b128 v[56:59], v168 offset:16576
	ds_read_b128 v[44:47], v168 offset:17472
	ds_read_b128 v[32:35], v168 offset:7168
	ds_read_b128 v[20:23], v168 offset:8064
	ds_read_b128 v[40:43], v168 offset:18368
	ds_read_b128 v[28:31], v168 offset:19264
	ds_read_b128 v[12:15], v168 offset:8960
	ds_read_b128 v[4:7], v168 offset:9856
	ds_read_b128 v[24:27], v168 offset:20160
	ds_read_b128 v[8:11], v168 offset:21056
                                        ; implicit-def: $vgpr0_vgpr1
                                        ; implicit-def: $vgpr16_vgpr17
	s_and_saveexec_b64 s[2:3], s[4:5]
	s_cbranch_execz .LBB0_5
; %bb.4:
	ds_read_b128 v[0:3], v168 offset:10752
	ds_read_b128 v[16:19], v168 offset:21952
.LBB0_5:
	s_or_b64 exec, exec, s[2:3]
	s_waitcnt lgkmcnt(14)
	v_add_f64 v[100:101], v[96:97], -v[100:101]
	v_add_f64 v[102:103], v[98:99], -v[102:103]
	s_waitcnt lgkmcnt(4)
	v_add_f64 v[28:29], v[20:21], -v[28:29]
	v_lshl_add_u64 v[142:143], v[214:215], 0, 56
	s_mov_b64 s[2:3], 0x70
	v_fma_f64 v[96:97], v[96:97], 2.0, -v[100:101]
	v_fma_f64 v[98:99], v[98:99], 2.0, -v[102:103]
	v_add_f64 v[92:93], v[84:85], -v[92:93]
	v_add_f64 v[94:95], v[86:87], -v[94:95]
	v_fma_f64 v[104:105], v[20:21], 2.0, -v[28:29]
	s_waitcnt lgkmcnt(0)
	v_add_f64 v[20:21], v[0:1], -v[16:17]
	v_lshlrev_b32_e32 v16, 5, v214
	v_lshl_add_u64 v[140:141], v[214:215], 0, s[2:3]
	s_mov_b64 s[2:3], 0xa8
	v_fma_f64 v[84:85], v[84:85], 2.0, -v[92:93]
	v_fma_f64 v[86:87], v[86:87], 2.0, -v[94:95]
	v_add_f64 v[88:89], v[80:81], -v[88:89]
	v_add_f64 v[90:91], v[82:83], -v[90:91]
	s_waitcnt lgkmcnt(0)
	; wave barrier
	ds_write_b128 v16, v[96:99]
	v_accvgpr_write_b32 a104, v16
	ds_write_b128 v16, v[100:103] offset:16
	v_lshlrev_b32_e32 v16, 5, v142
	v_lshl_add_u64 v[138:139], v[214:215], 0, s[2:3]
	s_mov_b64 s[2:3], 0xe0
	v_lshlrev_b32_e32 v112, 1, v214
	v_fma_f64 v[80:81], v[80:81], 2.0, -v[88:89]
	v_fma_f64 v[82:83], v[82:83], 2.0, -v[90:91]
	v_add_f64 v[76:77], v[68:69], -v[76:77]
	v_add_f64 v[78:79], v[70:71], -v[78:79]
	ds_write_b128 v16, v[84:87]
	v_accvgpr_write_b32 a105, v16
	ds_write_b128 v16, v[92:95] offset:16
	v_lshlrev_b32_e32 v16, 5, v140
	v_lshl_add_u64 v[136:137], v[214:215], 0, s[2:3]
	v_fma_f64 v[68:69], v[68:69], 2.0, -v[76:77]
	v_fma_f64 v[70:71], v[70:71], 2.0, -v[78:79]
	v_add_f64 v[72:73], v[64:65], -v[72:73]
	v_add_f64 v[74:75], v[66:67], -v[74:75]
	ds_write_b128 v16, v[80:83]
	v_accvgpr_write_b32 a106, v16
	ds_write_b128 v16, v[88:91] offset:16
	v_lshlrev_b32_e32 v16, 5, v138
	v_add_u32_e32 v115, 0x230, v112
	v_fma_f64 v[64:65], v[64:65], 2.0, -v[72:73]
	v_fma_f64 v[66:67], v[66:67], 2.0, -v[74:75]
	v_add_f64 v[60:61], v[52:53], -v[60:61]
	v_add_f64 v[62:63], v[54:55], -v[62:63]
	ds_write_b128 v16, v[68:71]
	v_accvgpr_write_b32 a107, v16
	ds_write_b128 v16, v[76:79] offset:16
	v_lshlrev_b32_e32 v16, 5, v136
	v_lshlrev_b32_e32 v17, 4, v115
	v_add_u32_e32 v118, 0x2a0, v112
	v_fma_f64 v[52:53], v[52:53], 2.0, -v[60:61]
	v_fma_f64 v[54:55], v[54:55], 2.0, -v[62:63]
	v_add_f64 v[56:57], v[48:49], -v[56:57]
	v_add_f64 v[58:59], v[50:51], -v[58:59]
	ds_write_b128 v16, v[64:67]
	v_accvgpr_write_b32 a108, v16
	ds_write_b128 v16, v[72:75] offset:16
	v_lshlrev_b32_e32 v16, 4, v112
	v_accvgpr_write_b32 a109, v17
	ds_write_b128 v17, v[60:63] offset:16
	v_lshlrev_b32_e32 v17, 4, v118
	v_add_u32_e32 v119, 0x310, v112
	v_fma_f64 v[48:49], v[48:49], 2.0, -v[56:57]
	v_fma_f64 v[50:51], v[50:51], 2.0, -v[58:59]
	v_add_f64 v[44:45], v[36:37], -v[44:45]
	v_add_f64 v[46:47], v[38:39], -v[46:47]
	;; [unrolled: 1-line block ×4, first 2 shown]
	ds_write_b128 v16, v[52:55] offset:8960
	v_accvgpr_write_b32 a111, v17
	ds_write_b128 v17, v[56:59] offset:16
	v_lshlrev_b32_e32 v17, 4, v119
	s_load_dwordx2 s[0:1], s[0:1], 0x8
	v_fma_f64 v[36:37], v[36:37], 2.0, -v[44:45]
	v_fma_f64 v[38:39], v[38:39], 2.0, -v[46:47]
	v_fma_f64 v[32:33], v[32:33], 2.0, -v[40:41]
	v_fma_f64 v[34:35], v[34:35], 2.0, -v[42:43]
	ds_write_b128 v16, v[48:51] offset:10752
	v_accvgpr_write_b32 a112, v17
	ds_write_b128 v17, v[44:47] offset:16
	v_lshlrev_b32_e32 v17, 5, v110
	v_add_u32_e32 v116, 0x3f0, v112
	s_mov_b64 s[2:3], 0x2a0
	v_add_f64 v[30:31], v[22:23], -v[30:31]
	v_add_f64 v[24:25], v[12:13], -v[24:25]
	;; [unrolled: 1-line block ×5, first 2 shown]
	ds_write_b128 v16, v[36:39] offset:12544
	ds_write_b128 v17, v[32:35]
	v_accvgpr_write_b32 a113, v17
	ds_write_b128 v17, v[40:43] offset:16
	v_lshlrev_b32_e32 v17, 4, v116
	v_add_u32_e32 v114, 0x460, v112
	v_lshl_add_u64 v[108:109], v[214:215], 0, s[2:3]
	v_fma_f64 v[106:107], v[22:23], 2.0, -v[30:31]
	v_fma_f64 v[12:13], v[12:13], 2.0, -v[24:25]
	;; [unrolled: 1-line block ×5, first 2 shown]
	v_accvgpr_write_b32 a114, v17
	ds_write_b128 v17, v[28:31] offset:16
	v_lshlrev_b32_e32 v17, 4, v114
	v_add_u32_e32 v113, 0x4d0, v112
	v_add_f64 v[22:23], v[2:3], -v[18:19]
	ds_write_b128 v16, v[104:107] offset:16128
	ds_write_b128 v16, v[12:15] offset:17920
	ds_write_b128 v17, v[24:27] offset:16
	v_lshlrev_b32_e32 v12, 4, v113
	ds_write_b128 v16, v[4:7] offset:19712
	v_lshlrev_b32_e32 v4, 5, v108
	v_fma_f64 v[0:1], v[0:1], 2.0, -v[20:21]
	v_fma_f64 v[2:3], v[2:3], 2.0, -v[22:23]
	v_lshlrev_b32_e32 v123, 1, v142
	v_lshlrev_b32_e32 v121, 1, v140
	;; [unrolled: 1-line block ×5, first 2 shown]
	v_accvgpr_write_b32 a115, v17
	v_accvgpr_write_b32 a116, v12
	;; [unrolled: 1-line block ×3, first 2 shown]
	scratch_store_dword off, v110, off      ; 4-byte Folded Spill
	ds_write_b128 v12, v[8:11] offset:16
	s_and_saveexec_b64 s[2:3], s[4:5]
	s_cbranch_execz .LBB0_7
; %bb.6:
	v_accvgpr_read_b32 v4, a110
	ds_write_b128 v4, v[0:3]
	ds_write_b128 v4, v[20:23] offset:16
.LBB0_7:
	s_or_b64 exec, exec, s[2:3]
	s_waitcnt lgkmcnt(0)
	; wave barrier
	s_waitcnt lgkmcnt(0)
	ds_read_b128 v[52:55], v168
	ds_read_b128 v[48:51], v168 offset:896
	ds_read_b128 v[104:107], v168 offset:11200
	;; [unrolled: 1-line block ×23, first 2 shown]
	s_and_saveexec_b64 s[2:3], s[4:5]
	s_cbranch_execz .LBB0_9
; %bb.8:
	ds_read_b128 v[0:3], v168 offset:10752
	ds_read_b128 v[20:23], v168 offset:21952
.LBB0_9:
	s_or_b64 exec, exec, s[2:3]
	v_and_b32_e32 v109, 1, v214
	v_lshlrev_b32_e32 v96, 4, v109
	global_load_dwordx4 v[96:99], v96, s[0:1]
	s_movk_i32 s2, 0x7c
	s_waitcnt lgkmcnt(0)
	; wave barrier
	s_waitcnt lgkmcnt(0)
	s_movk_i32 s3, 0x2fc
	v_accvgpr_write_b32 a21, v109
	s_waitcnt vmcnt(0)
	v_mul_f64 v[110:111], v[106:107], v[98:99]
	v_fma_f64 v[110:111], v[104:105], v[96:97], -v[110:111]
	v_mul_f64 v[104:105], v[104:105], v[98:99]
	v_fmac_f64_e32 v[104:105], v[106:107], v[96:97]
	v_mul_f64 v[106:107], v[102:103], v[98:99]
	v_fma_f64 v[106:107], v[100:101], v[96:97], -v[106:107]
	v_mul_f64 v[100:101], v[100:101], v[98:99]
	v_fmac_f64_e32 v[100:101], v[102:103], v[96:97]
	;; [unrolled: 4-line block ×3, first 2 shown]
	v_mul_f64 v[94:95], v[90:91], v[98:99]
	v_fma_f64 v[94:95], v[88:89], v[96:97], -v[94:95]
	v_mul_f64 v[124:125], v[88:89], v[98:99]
	v_mul_f64 v[88:89], v[86:87], v[98:99]
	v_fma_f64 v[126:127], v[84:85], v[96:97], -v[88:89]
	v_mul_f64 v[128:129], v[84:85], v[98:99]
	;; [unrolled: 3-line block ×4, first 2 shown]
	v_mul_f64 v[76:77], v[74:75], v[98:99]
	v_fmac_f64_e32 v[144:145], v[78:79], v[96:97]
	v_fma_f64 v[76:77], v[72:73], v[96:97], -v[76:77]
	v_mul_f64 v[78:79], v[72:73], v[98:99]
	v_mul_f64 v[72:73], v[70:71], v[98:99]
	v_fmac_f64_e32 v[78:79], v[74:75], v[96:97]
	v_fma_f64 v[72:73], v[68:69], v[96:97], -v[72:73]
	v_mul_f64 v[74:75], v[68:69], v[98:99]
	;; [unrolled: 4-line block ×5, first 2 shown]
	v_mul_f64 v[56:57], v[22:23], v[98:99]
	v_fmac_f64_e32 v[128:129], v[86:87], v[96:97]
	v_fma_f64 v[56:57], v[20:21], v[96:97], -v[56:57]
	v_add_f64 v[72:73], v[16:17], -v[72:73]
	v_fmac_f64_e32 v[132:133], v[82:83], v[96:97]
	v_fmac_f64_e32 v[62:63], v[58:59], v[96:97]
	v_add_f64 v[88:89], v[44:45], -v[102:103]
	v_add_f64 v[102:103], v[38:39], -v[128:129]
	v_fma_f64 v[128:129], v[16:17], 2.0, -v[72:73]
	v_add_f64 v[58:59], v[4:5], -v[60:61]
	v_add_f64 v[16:17], v[0:1], -v[56:57]
	;; [unrolled: 1-line block ×6, first 2 shown]
	v_fma_f64 v[132:133], v[4:5], 2.0, -v[58:59]
	v_fma_f64 v[4:5], v[0:1], 2.0, -v[16:17]
	v_and_or_b32 v0, v112, s2, v109
	v_fma_f64 v[52:53], v[52:53], 2.0, -v[80:81]
	v_fma_f64 v[54:55], v[54:55], 2.0, -v[82:83]
	v_lshlrev_b32_e32 v0, 4, v0
	s_movk_i32 s2, 0xfc
	v_add_f64 v[86:87], v[50:51], -v[100:101]
	ds_write_b128 v0, v[52:55]
	v_accvgpr_write_b32 a117, v0
	ds_write_b128 v0, v[80:83] offset:32
	v_and_or_b32 v0, v123, s2, v109
	v_fma_f64 v[48:49], v[48:49], 2.0, -v[84:85]
	v_fma_f64 v[50:51], v[50:51], 2.0, -v[86:87]
	v_lshlrev_b32_e32 v0, 4, v0
	s_movk_i32 s2, 0x1fc
	v_fmac_f64_e32 v[124:125], v[90:91], v[96:97]
	v_add_f64 v[90:91], v[46:47], -v[92:93]
	ds_write_b128 v0, v[48:51]
	v_accvgpr_write_b32 a118, v0
	ds_write_b128 v0, v[84:87] offset:32
	v_and_or_b32 v0, v121, s2, v109
	v_fma_f64 v[44:45], v[44:45], 2.0, -v[88:89]
	v_fma_f64 v[46:47], v[46:47], 2.0, -v[90:91]
	v_lshlrev_b32_e32 v0, 4, v0
	v_add_f64 v[92:93], v[40:41], -v[94:95]
	v_add_f64 v[94:95], v[42:43], -v[124:125]
	ds_write_b128 v0, v[44:47]
	v_accvgpr_write_b32 a119, v0
	ds_write_b128 v0, v[88:91] offset:32
	v_and_or_b32 v0, v122, s2, v109
	v_fma_f64 v[40:41], v[40:41], 2.0, -v[92:93]
	v_fma_f64 v[42:43], v[42:43], 2.0, -v[94:95]
	v_lshlrev_b32_e32 v0, 4, v0
	s_movk_i32 s2, 0x3fc
	v_add_f64 v[100:101], v[36:37], -v[126:127]
	ds_write_b128 v0, v[40:43]
	v_accvgpr_write_b32 a120, v0
	ds_write_b128 v0, v[92:95] offset:32
	v_and_or_b32 v0, v117, s2, v109
	v_fma_f64 v[36:37], v[36:37], 2.0, -v[100:101]
	v_fma_f64 v[38:39], v[38:39], 2.0, -v[102:103]
	v_lshlrev_b32_e32 v0, 4, v0
	v_add_f64 v[104:105], v[32:33], -v[130:131]
	ds_write_b128 v0, v[36:39]
	v_accvgpr_write_b32 a121, v0
	ds_write_b128 v0, v[100:103] offset:32
	v_and_or_b32 v0, v115, s3, v109
	v_fma_f64 v[32:33], v[32:33], 2.0, -v[104:105]
	v_fma_f64 v[34:35], v[34:35], 2.0, -v[106:107]
	v_lshlrev_b32_e32 v0, 4, v0
	v_add_f64 v[124:125], v[28:29], -v[134:135]
	v_add_f64 v[126:127], v[30:31], -v[144:145]
	ds_write_b128 v0, v[32:35]
	v_accvgpr_write_b32 a122, v0
	ds_write_b128 v0, v[104:107] offset:32
	v_and_or_b32 v0, v118, s2, v109
	v_fma_f64 v[28:29], v[28:29], 2.0, -v[124:125]
	v_fma_f64 v[30:31], v[30:31], 2.0, -v[126:127]
	v_lshlrev_b32_e32 v0, 4, v0
	v_mul_f64 v[20:21], v[20:21], v[98:99]
	v_add_f64 v[76:77], v[24:25], -v[76:77]
	v_add_f64 v[78:79], v[26:27], -v[78:79]
	ds_write_b128 v0, v[28:31]
	v_accvgpr_write_b32 a123, v0
	ds_write_b128 v0, v[124:127] offset:32
	v_and_or_b32 v0, v119, s2, v109
	v_fmac_f64_e32 v[20:21], v[22:23], v[96:97]
	v_fma_f64 v[22:23], v[24:25], 2.0, -v[76:77]
	v_fma_f64 v[24:25], v[26:27], 2.0, -v[78:79]
	v_lshlrev_b32_e32 v0, 4, v0
	v_add_f64 v[74:75], v[18:19], -v[74:75]
	ds_write_b128 v0, v[22:25]
	v_accvgpr_write_b32 a124, v0
	ds_write_b128 v0, v[76:79] offset:32
	v_and_or_b32 v0, v120, s2, v109
	v_fma_f64 v[130:131], v[18:19], 2.0, -v[74:75]
	v_lshlrev_b32_e32 v0, 4, v0
	s_movk_i32 s2, 0x7fc
	v_add_f64 v[68:69], v[12:13], -v[68:69]
	v_add_f64 v[70:71], v[14:15], -v[70:71]
	ds_write_b128 v0, v[128:131]
	v_accvgpr_write_b32 a125, v0
	ds_write_b128 v0, v[72:75] offset:32
	v_and_or_b32 v0, v116, s2, v109
	v_fma_f64 v[12:13], v[12:13], 2.0, -v[68:69]
	v_fma_f64 v[14:15], v[14:15], 2.0, -v[70:71]
	v_lshlrev_b32_e32 v0, 4, v0
	s_movk_i32 s2, 0x4fc
	v_add_f64 v[64:65], v[8:9], -v[64:65]
	v_add_f64 v[66:67], v[10:11], -v[66:67]
	ds_write_b128 v0, v[12:15]
	v_accvgpr_write_b32 a126, v0
	ds_write_b128 v0, v[68:71] offset:32
	v_and_or_b32 v0, v114, s2, v109
	v_fma_f64 v[8:9], v[8:9], 2.0, -v[64:65]
	v_fma_f64 v[10:11], v[10:11], 2.0, -v[66:67]
	v_lshlrev_b32_e32 v0, 4, v0
	s_movk_i32 s2, 0x5fc
	v_add_f64 v[60:61], v[6:7], -v[62:63]
	ds_write_b128 v0, v[8:11]
	v_accvgpr_write_b32 a127, v0
	ds_write_b128 v0, v[64:67] offset:32
	v_and_or_b32 v0, v113, s2, v109
	v_fma_f64 v[134:135], v[6:7], 2.0, -v[60:61]
	v_lshlrev_b32_e32 v0, 4, v0
	v_add_f64 v[18:19], v[2:3], -v[20:21]
	ds_write_b128 v0, v[132:135]
	v_accvgpr_write_b32 a128, v0
	ds_write_b128 v0, v[58:61] offset:32
	v_lshlrev_b32_e32 v0, 1, v108
	v_fma_f64 v[6:7], v[2:3], 2.0, -v[18:19]
	v_accvgpr_write_b32 a19, v0
	s_and_saveexec_b64 s[2:3], s[4:5]
	s_cbranch_execz .LBB0_11
; %bb.10:
	s_movk_i32 s12, 0x57c
	v_accvgpr_read_b32 v0, a19
	v_accvgpr_read_b32 v1, a21
	v_and_or_b32 v0, v0, s12, v1
	v_lshlrev_b32_e32 v0, 4, v0
	ds_write_b128 v0, v[4:7]
	ds_write_b128 v0, v[16:19] offset:32
.LBB0_11:
	s_or_b64 exec, exec, s[2:3]
	s_waitcnt lgkmcnt(0)
	; wave barrier
	s_waitcnt lgkmcnt(0)
	ds_read_b128 v[52:55], v168
	ds_read_b128 v[48:51], v168 offset:896
	ds_read_b128 v[108:111], v168 offset:11200
	;; [unrolled: 1-line block ×23, first 2 shown]
	s_and_saveexec_b64 s[2:3], s[4:5]
	s_cbranch_execz .LBB0_13
; %bb.12:
	ds_read_b128 v[4:7], v168 offset:10752
	ds_read_b128 v[16:19], v168 offset:21952
.LBB0_13:
	s_or_b64 exec, exec, s[2:3]
	v_and_b32_e32 v137, 3, v214
	v_lshlrev_b32_e32 v100, 4, v137
	global_load_dwordx4 v[100:103], v100, s[0:1] offset:32
	s_movk_i32 s2, 0x78
	s_waitcnt lgkmcnt(0)
	; wave barrier
	s_waitcnt lgkmcnt(0)
	s_movk_i32 s3, 0x2f8
	v_accvgpr_write_b32 a103, v137
	s_waitcnt vmcnt(0)
	v_mul_f64 v[124:125], v[110:111], v[102:103]
	v_fma_f64 v[124:125], v[108:109], v[100:101], -v[124:125]
	v_mul_f64 v[108:109], v[108:109], v[102:103]
	v_fmac_f64_e32 v[108:109], v[110:111], v[100:101]
	v_mul_f64 v[110:111], v[106:107], v[102:103]
	v_fma_f64 v[110:111], v[104:105], v[100:101], -v[110:111]
	v_mul_f64 v[104:105], v[104:105], v[102:103]
	v_fmac_f64_e32 v[104:105], v[106:107], v[100:101]
	;; [unrolled: 4-line block ×3, first 2 shown]
	v_mul_f64 v[94:95], v[90:91], v[102:103]
	v_fma_f64 v[94:95], v[88:89], v[100:101], -v[94:95]
	v_mul_f64 v[126:127], v[88:89], v[102:103]
	v_mul_f64 v[88:89], v[86:87], v[102:103]
	v_fma_f64 v[128:129], v[84:85], v[100:101], -v[88:89]
	v_mul_f64 v[130:131], v[84:85], v[102:103]
	;; [unrolled: 3-line block ×4, first 2 shown]
	v_mul_f64 v[76:77], v[74:75], v[102:103]
	v_fmac_f64_e32 v[146:147], v[78:79], v[100:101]
	v_fma_f64 v[76:77], v[72:73], v[100:101], -v[76:77]
	v_mul_f64 v[78:79], v[72:73], v[102:103]
	v_mul_f64 v[72:73], v[70:71], v[102:103]
	v_fmac_f64_e32 v[78:79], v[74:75], v[100:101]
	v_fma_f64 v[72:73], v[68:69], v[100:101], -v[72:73]
	v_mul_f64 v[74:75], v[68:69], v[102:103]
	;; [unrolled: 4-line block ×6, first 2 shown]
	v_fmac_f64_e32 v[130:131], v[86:87], v[100:101]
	v_fmac_f64_e32 v[16:17], v[18:19], v[100:101]
	v_add_f64 v[58:59], v[0:1], -v[60:61]
	v_add_f64 v[60:61], v[2:3], -v[62:63]
	v_fmac_f64_e32 v[134:135], v[82:83], v[100:101]
	v_add_f64 v[80:81], v[52:53], -v[124:125]
	v_add_f64 v[82:83], v[54:55], -v[108:109]
	;; [unrolled: 1-line block ×4, first 2 shown]
	v_fma_f64 v[130:131], v[2:3], 2.0, -v[60:61]
	v_add_f64 v[2:3], v[6:7], -v[16:17]
	v_and_or_b32 v16, v112, s2, v137
	v_fma_f64 v[52:53], v[52:53], 2.0, -v[80:81]
	v_fma_f64 v[54:55], v[54:55], 2.0, -v[82:83]
	v_lshlrev_b32_e32 v16, 4, v16
	s_movk_i32 s2, 0xf8
	v_add_f64 v[84:85], v[48:49], -v[110:111]
	v_add_f64 v[86:87], v[50:51], -v[104:105]
	ds_write_b128 v16, v[52:55]
	v_accvgpr_write_b32 a129, v16
	ds_write_b128 v16, v[80:83] offset:64
	v_and_or_b32 v16, v123, s2, v137
	v_fma_f64 v[48:49], v[48:49], 2.0, -v[84:85]
	v_fma_f64 v[50:51], v[50:51], 2.0, -v[86:87]
	v_lshlrev_b32_e32 v16, 4, v16
	s_movk_i32 s2, 0x1f8
	v_fmac_f64_e32 v[126:127], v[90:91], v[100:101]
	v_add_f64 v[90:91], v[46:47], -v[92:93]
	ds_write_b128 v16, v[48:51]
	v_accvgpr_write_b32 a130, v16
	ds_write_b128 v16, v[84:87] offset:64
	v_and_or_b32 v16, v121, s2, v137
	v_fma_f64 v[44:45], v[44:45], 2.0, -v[88:89]
	v_fma_f64 v[46:47], v[46:47], 2.0, -v[90:91]
	v_lshlrev_b32_e32 v16, 4, v16
	v_add_f64 v[92:93], v[40:41], -v[94:95]
	v_add_f64 v[94:95], v[42:43], -v[126:127]
	ds_write_b128 v16, v[44:47]
	v_accvgpr_write_b32 a131, v16
	ds_write_b128 v16, v[88:91] offset:64
	v_and_or_b32 v16, v122, s2, v137
	v_fma_f64 v[40:41], v[40:41], 2.0, -v[92:93]
	v_fma_f64 v[42:43], v[42:43], 2.0, -v[94:95]
	v_lshlrev_b32_e32 v16, 4, v16
	s_movk_i32 s2, 0x3f8
	v_add_f64 v[104:105], v[36:37], -v[128:129]
	ds_write_b128 v16, v[40:43]
	v_accvgpr_write_b32 a132, v16
	ds_write_b128 v16, v[92:95] offset:64
	v_and_or_b32 v16, v117, s2, v137
	v_fma_f64 v[36:37], v[36:37], 2.0, -v[104:105]
	v_fma_f64 v[38:39], v[38:39], 2.0, -v[106:107]
	v_lshlrev_b32_e32 v16, 4, v16
	v_add_f64 v[108:109], v[32:33], -v[132:133]
	v_add_f64 v[110:111], v[34:35], -v[134:135]
	ds_write_b128 v16, v[36:39]
	v_accvgpr_write_b32 a133, v16
	ds_write_b128 v16, v[104:107] offset:64
	v_and_or_b32 v16, v115, s3, v137
	v_fma_f64 v[32:33], v[32:33], 2.0, -v[108:109]
	v_fma_f64 v[34:35], v[34:35], 2.0, -v[110:111]
	v_lshlrev_b32_e32 v16, 4, v16
	v_add_f64 v[124:125], v[28:29], -v[144:145]
	;; [unrolled: 9-line block ×4, first 2 shown]
	v_add_f64 v[74:75], v[22:23], -v[74:75]
	ds_write_b128 v16, v[24:27]
	v_accvgpr_write_b32 a136, v16
	ds_write_b128 v16, v[76:79] offset:64
	v_and_or_b32 v16, v120, s2, v137
	v_fma_f64 v[18:19], v[20:21], 2.0, -v[72:73]
	v_fma_f64 v[20:21], v[22:23], 2.0, -v[74:75]
	v_lshlrev_b32_e32 v16, 4, v16
	s_movk_i32 s2, 0x7f8
	v_add_f64 v[68:69], v[12:13], -v[68:69]
	v_add_f64 v[70:71], v[14:15], -v[70:71]
	ds_write_b128 v16, v[18:21]
	v_accvgpr_write_b32 a137, v16
	ds_write_b128 v16, v[72:75] offset:64
	v_and_or_b32 v16, v116, s2, v137
	v_fma_f64 v[12:13], v[12:13], 2.0, -v[68:69]
	v_fma_f64 v[14:15], v[14:15], 2.0, -v[70:71]
	v_lshlrev_b32_e32 v16, 4, v16
	s_movk_i32 s2, 0x4f8
	v_add_f64 v[64:65], v[8:9], -v[64:65]
	v_add_f64 v[66:67], v[10:11], -v[66:67]
	ds_write_b128 v16, v[12:15]
	v_and_or_b32 v12, v114, s2, v137
	v_fma_f64 v[8:9], v[8:9], 2.0, -v[64:65]
	v_fma_f64 v[10:11], v[10:11], 2.0, -v[66:67]
	v_lshlrev_b32_e32 v12, 4, v12
	s_movk_i32 s2, 0x5f8
	ds_write_b128 v16, v[68:71] offset:64
	ds_write_b128 v12, v[8:11]
	v_and_or_b32 v8, v113, s2, v137
	v_lshlrev_b32_e32 v8, 4, v8
	v_fma_f64 v[128:129], v[0:1], 2.0, -v[58:59]
	v_add_f64 v[0:1], v[4:5], -v[56:57]
	v_accvgpr_write_b32 a138, v16
	v_accvgpr_write_b32 a139, v12
	;; [unrolled: 1-line block ×3, first 2 shown]
	ds_write_b128 v12, v[64:67] offset:64
	ds_write_b128 v8, v[128:131]
	ds_write_b128 v8, v[58:61] offset:64
	s_and_saveexec_b64 s[2:3], s[4:5]
	s_cbranch_execz .LBB0_15
; %bb.14:
	s_movk_i32 s12, 0x578
	v_accvgpr_read_b32 v8, a19
	v_accvgpr_read_b32 v9, a103
	v_and_or_b32 v8, v8, s12, v9
	v_fma_f64 v[6:7], v[6:7], 2.0, -v[2:3]
	v_fma_f64 v[4:5], v[4:5], 2.0, -v[0:1]
	v_lshlrev_b32_e32 v8, 4, v8
	ds_write_b128 v8, v[4:7]
	ds_write_b128 v8, v[0:3] offset:64
.LBB0_15:
	s_or_b64 exec, exec, s[2:3]
	v_and_b32_e32 v137, 7, v214
	v_lshlrev_b32_e32 v116, 6, v137
	s_waitcnt lgkmcnt(0)
	; wave barrier
	s_waitcnt lgkmcnt(0)
	ds_read_b128 v[24:27], v168
	ds_read_b128 v[124:127], v168 offset:4480
	ds_read_b128 v[120:123], v168 offset:8960
	;; [unrolled: 1-line block ×24, first 2 shown]
	global_load_dwordx4 v[104:107], v116, s[0:1] offset:144
	global_load_dwordx4 v[108:111], v116, s[0:1] offset:128
	;; [unrolled: 1-line block ×3, first 2 shown]
	s_nop 0
	global_load_dwordx4 v[116:119], v116, s[0:1] offset:96
	s_mov_b32 s12, 0x134454ff
	s_mov_b32 s13, 0x3fee6f0e
	;; [unrolled: 1-line block ×10, first 2 shown]
	s_waitcnt lgkmcnt(0)
	; wave barrier
	s_waitcnt vmcnt(3) lgkmcnt(0)
	v_mul_f64 v[180:181], v[88:89], v[106:107]
	s_waitcnt vmcnt(2)
	v_mul_f64 v[174:175], v[92:93], v[110:111]
	s_waitcnt vmcnt(1)
	;; [unrolled: 2-line block ×3, first 2 shown]
	v_mul_f64 v[128:129], v[126:127], v[118:119]
	v_fma_f64 v[176:177], v[124:125], v[116:117], -v[128:129]
	v_mul_f64 v[166:167], v[124:125], v[118:119]
	v_mul_f64 v[124:125], v[122:123], v[114:115]
	v_fma_f64 v[178:179], v[120:121], v[112:113], -v[124:125]
	v_mul_f64 v[120:121], v[94:95], v[110:111]
	v_fma_f64 v[182:183], v[92:93], v[108:109], -v[120:121]
	;; [unrolled: 2-line block ×4, first 2 shown]
	v_mul_f64 v[120:121], v[84:85], v[118:119]
	v_mul_f64 v[84:85], v[82:83], v[114:115]
	v_fma_f64 v[162:163], v[80:81], v[112:113], -v[84:85]
	v_mul_f64 v[80:81], v[80:81], v[114:115]
	v_fmac_f64_e32 v[80:81], v[82:83], v[112:113]
	v_mul_f64 v[82:83], v[78:79], v[110:111]
	v_fma_f64 v[164:165], v[76:77], v[108:109], -v[82:83]
	v_mul_f64 v[76:77], v[76:77], v[110:111]
	v_fmac_f64_e32 v[76:77], v[78:79], v[108:109]
	;; [unrolled: 4-line block ×3, first 2 shown]
	v_mul_f64 v[74:75], v[70:71], v[118:119]
	v_fma_f64 v[78:79], v[68:69], v[116:117], -v[74:75]
	v_mul_f64 v[84:85], v[68:69], v[118:119]
	v_mul_f64 v[68:69], v[66:67], v[114:115]
	v_fmac_f64_e32 v[120:121], v[86:87], v[116:117]
	v_fma_f64 v[82:83], v[64:65], v[112:113], -v[68:69]
	v_mul_f64 v[86:87], v[64:65], v[114:115]
	v_mul_f64 v[64:65], v[62:63], v[110:111]
	v_fma_f64 v[92:93], v[60:61], v[108:109], -v[64:65]
	v_mul_f64 v[88:89], v[60:61], v[110:111]
	v_mul_f64 v[60:61], v[58:59], v[106:107]
	v_fmac_f64_e32 v[180:181], v[90:91], v[104:105]
	v_fma_f64 v[156:157], v[56:57], v[104:105], -v[60:61]
	v_mul_f64 v[90:91], v[56:57], v[106:107]
	v_mul_f64 v[56:57], v[54:55], v[118:119]
	v_fmac_f64_e32 v[166:167], v[126:127], v[116:117]
	v_fmac_f64_e32 v[174:175], v[94:95], v[108:109]
	v_fma_f64 v[94:95], v[52:53], v[116:117], -v[56:57]
	v_mul_f64 v[126:127], v[52:53], v[118:119]
	v_mul_f64 v[52:53], v[50:51], v[114:115]
	v_fmac_f64_e32 v[172:173], v[122:123], v[112:113]
	v_fma_f64 v[122:123], v[48:49], v[112:113], -v[52:53]
	v_mul_f64 v[148:149], v[48:49], v[114:115]
	v_mul_f64 v[48:49], v[46:47], v[110:111]
	v_fma_f64 v[154:155], v[44:45], v[108:109], -v[48:49]
	v_mul_f64 v[150:151], v[44:45], v[110:111]
	v_mul_f64 v[44:45], v[42:43], v[106:107]
	;; [unrolled: 3-line block ×4, first 2 shown]
	v_fmac_f64_e32 v[124:125], v[38:39], v[116:117]
	v_fma_f64 v[38:39], v[32:33], v[112:113], -v[36:37]
	v_mul_f64 v[128:129], v[32:33], v[114:115]
	v_mul_f64 v[32:33], v[30:31], v[110:111]
	v_fma_f64 v[144:145], v[28:29], v[108:109], -v[32:33]
	v_mul_f64 v[130:131], v[28:29], v[110:111]
	v_mul_f64 v[28:29], v[10:11], v[106:107]
	v_fma_f64 v[146:147], v[8:9], v[104:105], -v[28:29]
	v_mul_f64 v[132:133], v[8:9], v[106:107]
	v_add_f64 v[8:9], v[24:25], v[176:177]
	v_add_f64 v[8:9], v[8:9], v[178:179]
	;; [unrolled: 1-line block ×5, first 2 shown]
	v_fma_f64 v[28:29], -0.5, v[8:9], v[24:25]
	v_add_f64 v[8:9], v[166:167], -v[180:181]
	v_fmac_f64_e32 v[130:131], v[30:31], v[108:109]
	v_fmac_f64_e32 v[132:133], v[10:11], v[104:105]
	v_fma_f64 v[44:45], s[12:13], v[8:9], v[28:29]
	v_add_f64 v[10:11], v[172:173], -v[174:175]
	v_add_f64 v[30:31], v[176:177], -v[178:179]
	v_add_f64 v[32:33], v[184:185], -v[182:183]
	v_fmac_f64_e32 v[28:29], s[18:19], v[8:9]
	v_fmac_f64_e32 v[44:45], s[2:3], v[10:11]
	v_add_f64 v[30:31], v[30:31], v[32:33]
	v_fmac_f64_e32 v[28:29], s[20:21], v[10:11]
	v_fmac_f64_e32 v[44:45], s[14:15], v[30:31]
	;; [unrolled: 1-line block ×3, first 2 shown]
	v_add_f64 v[30:31], v[176:177], v[184:185]
	v_fmac_f64_e32 v[24:25], -0.5, v[30:31]
	v_fma_f64 v[48:49], s[18:19], v[10:11], v[24:25]
	v_fmac_f64_e32 v[24:25], s[12:13], v[10:11]
	v_fmac_f64_e32 v[48:49], s[2:3], v[8:9]
	;; [unrolled: 1-line block ×3, first 2 shown]
	v_add_f64 v[8:9], v[26:27], v[166:167]
	v_add_f64 v[8:9], v[8:9], v[172:173]
	v_add_f64 v[30:31], v[178:179], -v[176:177]
	v_add_f64 v[32:33], v[182:183], -v[184:185]
	v_add_f64 v[8:9], v[8:9], v[174:175]
	v_fmac_f64_e32 v[152:153], v[42:43], v[104:105]
	v_add_f64 v[30:31], v[30:31], v[32:33]
	v_add_f64 v[42:43], v[8:9], v[180:181]
	v_add_f64 v[8:9], v[172:173], v[174:175]
	v_fmac_f64_e32 v[48:49], s[14:15], v[30:31]
	v_fmac_f64_e32 v[24:25], s[14:15], v[30:31]
	v_fma_f64 v[30:31], -0.5, v[8:9], v[26:27]
	v_add_f64 v[8:9], v[176:177], -v[184:185]
	v_fmac_f64_e32 v[150:151], v[46:47], v[108:109]
	v_fmac_f64_e32 v[128:129], v[34:35], v[112:113]
	v_fma_f64 v[46:47], s[18:19], v[8:9], v[30:31]
	v_add_f64 v[10:11], v[178:179], -v[182:183]
	v_add_f64 v[32:33], v[166:167], -v[172:173]
	;; [unrolled: 1-line block ×3, first 2 shown]
	v_fmac_f64_e32 v[30:31], s[12:13], v[8:9]
	v_fmac_f64_e32 v[46:47], s[20:21], v[10:11]
	v_add_f64 v[32:33], v[32:33], v[34:35]
	v_fmac_f64_e32 v[30:31], s[2:3], v[10:11]
	v_fmac_f64_e32 v[46:47], s[14:15], v[32:33]
	;; [unrolled: 1-line block ×3, first 2 shown]
	v_add_f64 v[32:33], v[166:167], v[180:181]
	v_fmac_f64_e32 v[26:27], -0.5, v[32:33]
	v_fmac_f64_e32 v[148:149], v[50:51], v[112:113]
	v_fma_f64 v[50:51], s[12:13], v[10:11], v[26:27]
	v_fmac_f64_e32 v[26:27], s[18:19], v[10:11]
	v_fmac_f64_e32 v[50:51], s[20:21], v[8:9]
	;; [unrolled: 1-line block ×3, first 2 shown]
	v_add_f64 v[8:9], v[20:21], v[160:161]
	v_add_f64 v[8:9], v[8:9], v[162:163]
	v_add_f64 v[8:9], v[8:9], v[164:165]
	v_add_f64 v[32:33], v[172:173], -v[166:167]
	v_add_f64 v[34:35], v[174:175], -v[180:181]
	v_add_f64 v[56:57], v[8:9], v[170:171]
	v_add_f64 v[8:9], v[162:163], v[164:165]
	;; [unrolled: 1-line block ×3, first 2 shown]
	v_fma_f64 v[52:53], -0.5, v[8:9], v[20:21]
	v_add_f64 v[8:9], v[120:121], -v[72:73]
	v_fmac_f64_e32 v[50:51], s[14:15], v[32:33]
	v_fmac_f64_e32 v[26:27], s[14:15], v[32:33]
	v_fma_f64 v[60:61], s[12:13], v[8:9], v[52:53]
	v_add_f64 v[10:11], v[80:81], -v[76:77]
	v_add_f64 v[32:33], v[160:161], -v[162:163]
	;; [unrolled: 1-line block ×3, first 2 shown]
	v_fmac_f64_e32 v[52:53], s[18:19], v[8:9]
	v_fmac_f64_e32 v[60:61], s[2:3], v[10:11]
	v_add_f64 v[32:33], v[32:33], v[34:35]
	v_fmac_f64_e32 v[52:53], s[20:21], v[10:11]
	v_fmac_f64_e32 v[60:61], s[14:15], v[32:33]
	;; [unrolled: 1-line block ×3, first 2 shown]
	v_add_f64 v[32:33], v[160:161], v[170:171]
	v_fmac_f64_e32 v[20:21], -0.5, v[32:33]
	v_fma_f64 v[64:65], s[18:19], v[10:11], v[20:21]
	v_fmac_f64_e32 v[20:21], s[12:13], v[10:11]
	v_fmac_f64_e32 v[64:65], s[2:3], v[8:9]
	;; [unrolled: 1-line block ×3, first 2 shown]
	v_add_f64 v[8:9], v[22:23], v[120:121]
	v_add_f64 v[8:9], v[8:9], v[80:81]
	;; [unrolled: 1-line block ×3, first 2 shown]
	v_fmac_f64_e32 v[90:91], v[58:59], v[104:105]
	v_add_f64 v[32:33], v[162:163], -v[160:161]
	v_add_f64 v[34:35], v[164:165], -v[170:171]
	v_add_f64 v[58:59], v[8:9], v[72:73]
	v_add_f64 v[8:9], v[80:81], v[76:77]
	v_fmac_f64_e32 v[126:127], v[54:55], v[116:117]
	v_add_f64 v[32:33], v[32:33], v[34:35]
	v_fma_f64 v[54:55], -0.5, v[8:9], v[22:23]
	v_add_f64 v[8:9], v[160:161], -v[170:171]
	v_fmac_f64_e32 v[88:89], v[62:63], v[108:109]
	v_fmac_f64_e32 v[64:65], s[14:15], v[32:33]
	;; [unrolled: 1-line block ×3, first 2 shown]
	v_fma_f64 v[62:63], s[18:19], v[8:9], v[54:55]
	v_add_f64 v[10:11], v[162:163], -v[164:165]
	v_add_f64 v[32:33], v[120:121], -v[80:81]
	;; [unrolled: 1-line block ×3, first 2 shown]
	v_fmac_f64_e32 v[54:55], s[12:13], v[8:9]
	v_fmac_f64_e32 v[62:63], s[20:21], v[10:11]
	v_add_f64 v[32:33], v[32:33], v[34:35]
	v_fmac_f64_e32 v[54:55], s[2:3], v[10:11]
	v_fmac_f64_e32 v[62:63], s[14:15], v[32:33]
	;; [unrolled: 1-line block ×3, first 2 shown]
	v_add_f64 v[32:33], v[120:121], v[72:73]
	v_fmac_f64_e32 v[22:23], -0.5, v[32:33]
	v_fmac_f64_e32 v[86:87], v[66:67], v[112:113]
	v_fma_f64 v[66:67], s[12:13], v[10:11], v[22:23]
	v_fmac_f64_e32 v[22:23], s[18:19], v[10:11]
	v_fmac_f64_e32 v[66:67], s[20:21], v[8:9]
	;; [unrolled: 1-line block ×3, first 2 shown]
	v_add_f64 v[8:9], v[16:17], v[78:79]
	v_add_f64 v[8:9], v[8:9], v[82:83]
	;; [unrolled: 1-line block ×3, first 2 shown]
	v_fmac_f64_e32 v[84:85], v[70:71], v[116:117]
	v_add_f64 v[32:33], v[80:81], -v[120:121]
	v_add_f64 v[34:35], v[76:77], -v[72:73]
	v_add_f64 v[72:73], v[8:9], v[156:157]
	v_add_f64 v[8:9], v[82:83], v[92:93]
	v_add_f64 v[32:33], v[32:33], v[34:35]
	v_fma_f64 v[68:69], -0.5, v[8:9], v[16:17]
	v_add_f64 v[8:9], v[84:85], -v[90:91]
	v_fmac_f64_e32 v[66:67], s[14:15], v[32:33]
	v_fmac_f64_e32 v[22:23], s[14:15], v[32:33]
	v_fma_f64 v[76:77], s[12:13], v[8:9], v[68:69]
	v_add_f64 v[10:11], v[86:87], -v[88:89]
	v_add_f64 v[32:33], v[78:79], -v[82:83]
	v_add_f64 v[34:35], v[156:157], -v[92:93]
	v_fmac_f64_e32 v[68:69], s[18:19], v[8:9]
	v_fmac_f64_e32 v[76:77], s[2:3], v[10:11]
	v_add_f64 v[32:33], v[32:33], v[34:35]
	v_fmac_f64_e32 v[68:69], s[20:21], v[10:11]
	v_fmac_f64_e32 v[76:77], s[14:15], v[32:33]
	v_fmac_f64_e32 v[68:69], s[14:15], v[32:33]
	v_add_f64 v[32:33], v[78:79], v[156:157]
	v_fmac_f64_e32 v[16:17], -0.5, v[32:33]
	v_fma_f64 v[80:81], s[18:19], v[10:11], v[16:17]
	v_fmac_f64_e32 v[16:17], s[12:13], v[10:11]
	v_fmac_f64_e32 v[80:81], s[2:3], v[8:9]
	v_fmac_f64_e32 v[16:17], s[20:21], v[8:9]
	v_add_f64 v[8:9], v[18:19], v[84:85]
	v_add_f64 v[8:9], v[8:9], v[86:87]
	v_add_f64 v[8:9], v[8:9], v[88:89]
	v_add_f64 v[32:33], v[82:83], -v[78:79]
	v_add_f64 v[34:35], v[92:93], -v[156:157]
	v_add_f64 v[74:75], v[8:9], v[90:91]
	v_add_f64 v[8:9], v[86:87], v[88:89]
	v_add_f64 v[32:33], v[32:33], v[34:35]
	v_fma_f64 v[70:71], -0.5, v[8:9], v[18:19]
	v_add_f64 v[8:9], v[78:79], -v[156:157]
	v_fmac_f64_e32 v[80:81], s[14:15], v[32:33]
	v_fmac_f64_e32 v[16:17], s[14:15], v[32:33]
	v_fma_f64 v[78:79], s[18:19], v[8:9], v[70:71]
	v_add_f64 v[10:11], v[82:83], -v[92:93]
	v_add_f64 v[32:33], v[84:85], -v[86:87]
	v_add_f64 v[34:35], v[90:91], -v[88:89]
	v_fmac_f64_e32 v[70:71], s[12:13], v[8:9]
	v_fmac_f64_e32 v[78:79], s[20:21], v[10:11]
	v_add_f64 v[32:33], v[32:33], v[34:35]
	v_fmac_f64_e32 v[70:71], s[2:3], v[10:11]
	v_fmac_f64_e32 v[78:79], s[14:15], v[32:33]
	v_fmac_f64_e32 v[70:71], s[14:15], v[32:33]
	v_add_f64 v[32:33], v[84:85], v[90:91]
	v_fmac_f64_e32 v[18:19], -0.5, v[32:33]
	v_fma_f64 v[82:83], s[12:13], v[10:11], v[18:19]
	v_fmac_f64_e32 v[18:19], s[18:19], v[10:11]
	v_fmac_f64_e32 v[82:83], s[20:21], v[8:9]
	v_fmac_f64_e32 v[18:19], s[2:3], v[8:9]
	v_add_f64 v[8:9], v[12:13], v[94:95]
	v_add_f64 v[8:9], v[8:9], v[122:123]
	v_add_f64 v[8:9], v[8:9], v[154:155]
	;; [unrolled: 28-line block ×3, first 2 shown]
	v_add_f64 v[32:33], v[122:123], -v[94:95]
	v_add_f64 v[34:35], v[154:155], -v[158:159]
	v_add_f64 v[90:91], v[8:9], v[152:153]
	v_add_f64 v[8:9], v[148:149], v[150:151]
	;; [unrolled: 1-line block ×3, first 2 shown]
	v_fma_f64 v[86:87], -0.5, v[8:9], v[14:15]
	v_add_f64 v[8:9], v[94:95], -v[158:159]
	v_fmac_f64_e32 v[120:121], s[14:15], v[32:33]
	v_fmac_f64_e32 v[12:13], s[14:15], v[32:33]
	v_fma_f64 v[94:95], s[18:19], v[8:9], v[86:87]
	v_add_f64 v[10:11], v[122:123], -v[154:155]
	v_add_f64 v[32:33], v[126:127], -v[148:149]
	v_add_f64 v[34:35], v[152:153], -v[150:151]
	v_fmac_f64_e32 v[86:87], s[12:13], v[8:9]
	v_fmac_f64_e32 v[94:95], s[20:21], v[10:11]
	v_add_f64 v[32:33], v[32:33], v[34:35]
	v_fmac_f64_e32 v[86:87], s[2:3], v[10:11]
	v_fmac_f64_e32 v[94:95], s[14:15], v[32:33]
	;; [unrolled: 1-line block ×3, first 2 shown]
	v_add_f64 v[32:33], v[126:127], v[152:153]
	v_fmac_f64_e32 v[14:15], -0.5, v[32:33]
	v_fma_f64 v[122:123], s[12:13], v[10:11], v[14:15]
	v_fmac_f64_e32 v[14:15], s[18:19], v[10:11]
	v_fmac_f64_e32 v[122:123], s[20:21], v[8:9]
	;; [unrolled: 1-line block ×3, first 2 shown]
	v_add_f64 v[8:9], v[4:5], v[134:135]
	v_add_f64 v[8:9], v[8:9], v[38:39]
	v_add_f64 v[32:33], v[148:149], -v[126:127]
	v_add_f64 v[34:35], v[150:151], -v[152:153]
	v_add_f64 v[8:9], v[8:9], v[144:145]
	v_add_f64 v[32:33], v[32:33], v[34:35]
	v_add_f64 v[148:149], v[8:9], v[146:147]
	v_add_f64 v[8:9], v[38:39], v[144:145]
	v_fmac_f64_e32 v[122:123], s[14:15], v[32:33]
	v_fmac_f64_e32 v[14:15], s[14:15], v[32:33]
	v_fma_f64 v[32:33], -0.5, v[8:9], v[4:5]
	v_add_f64 v[10:11], v[124:125], -v[132:133]
	v_fma_f64 v[8:9], s[12:13], v[10:11], v[32:33]
	v_add_f64 v[34:35], v[128:129], -v[130:131]
	v_add_f64 v[36:37], v[134:135], -v[38:39]
	;; [unrolled: 1-line block ×3, first 2 shown]
	v_fmac_f64_e32 v[32:33], s[18:19], v[10:11]
	v_fmac_f64_e32 v[8:9], s[2:3], v[34:35]
	v_add_f64 v[36:37], v[36:37], v[126:127]
	v_fmac_f64_e32 v[32:33], s[20:21], v[34:35]
	v_fmac_f64_e32 v[8:9], s[14:15], v[36:37]
	v_fmac_f64_e32 v[32:33], s[14:15], v[36:37]
	v_add_f64 v[36:37], v[134:135], v[146:147]
	v_fmac_f64_e32 v[4:5], -0.5, v[36:37]
	v_fma_f64 v[36:37], s[18:19], v[34:35], v[4:5]
	v_fmac_f64_e32 v[4:5], s[12:13], v[34:35]
	v_fmac_f64_e32 v[36:37], s[2:3], v[10:11]
	;; [unrolled: 1-line block ×3, first 2 shown]
	v_add_f64 v[10:11], v[6:7], v[124:125]
	v_add_f64 v[10:11], v[10:11], v[128:129]
	v_add_f64 v[126:127], v[38:39], -v[134:135]
	v_add_f64 v[150:151], v[144:145], -v[146:147]
	v_add_f64 v[10:11], v[10:11], v[130:131]
	v_add_f64 v[126:127], v[126:127], v[150:151]
	;; [unrolled: 1-line block ×4, first 2 shown]
	v_fmac_f64_e32 v[36:37], s[14:15], v[126:127]
	v_fmac_f64_e32 v[4:5], s[14:15], v[126:127]
	v_fma_f64 v[34:35], -0.5, v[10:11], v[6:7]
	v_add_f64 v[126:127], v[134:135], -v[146:147]
	v_fma_f64 v[10:11], s[18:19], v[126:127], v[34:35]
	v_add_f64 v[134:135], v[38:39], -v[144:145]
	v_add_f64 v[38:39], v[124:125], -v[128:129]
	;; [unrolled: 1-line block ×3, first 2 shown]
	v_fmac_f64_e32 v[34:35], s[12:13], v[126:127]
	v_fmac_f64_e32 v[10:11], s[20:21], v[134:135]
	v_add_f64 v[38:39], v[38:39], v[144:145]
	v_fmac_f64_e32 v[34:35], s[2:3], v[134:135]
	v_fmac_f64_e32 v[10:11], s[14:15], v[38:39]
	;; [unrolled: 1-line block ×3, first 2 shown]
	v_add_f64 v[38:39], v[124:125], v[132:133]
	v_fmac_f64_e32 v[6:7], -0.5, v[38:39]
	v_fma_f64 v[38:39], s[12:13], v[134:135], v[6:7]
	v_add_f64 v[124:125], v[128:129], -v[124:125]
	v_add_f64 v[128:129], v[130:131], -v[132:133]
	v_fmac_f64_e32 v[6:7], s[18:19], v[134:135]
	v_fmac_f64_e32 v[38:39], s[20:21], v[126:127]
	v_add_f64 v[124:125], v[124:125], v[128:129]
	v_fmac_f64_e32 v[6:7], s[2:3], v[126:127]
	v_fmac_f64_e32 v[38:39], s[14:15], v[124:125]
	v_fmac_f64_e32 v[6:7], s[14:15], v[124:125]
	v_lshrrev_b32_e32 v124, 3, v214
	v_mul_u32_u24_e32 v124, 40, v124
	v_or_b32_e32 v124, v124, v137
	v_lshlrev_b32_e32 v124, 4, v124
	ds_write_b128 v124, v[40:43]
	ds_write_b128 v124, v[44:47] offset:128
	ds_write_b128 v124, v[48:51] offset:256
	ds_write_b128 v124, v[24:27] offset:384
	v_lshrrev_b32_e32 v24, 3, v142
	v_mul_u32_u24_e32 v24, 40, v24
	v_or_b32_e32 v24, v24, v137
	v_lshlrev_b32_e32 v24, 4, v24
	ds_write_b128 v124, v[28:31] offset:512
	ds_write_b128 v24, v[56:59]
	ds_write_b128 v24, v[60:63] offset:128
	ds_write_b128 v24, v[64:67] offset:256
	ds_write_b128 v24, v[20:23] offset:384
	v_lshrrev_b32_e32 v20, 3, v140
	v_mul_u32_u24_e32 v20, 40, v20
	v_or_b32_e32 v20, v20, v137
	v_lshlrev_b32_e32 v20, 4, v20
	ds_write_b128 v24, v[52:55] offset:512
	;; [unrolled: 9-line block ×3, first 2 shown]
	ds_write_b128 v16, v[88:91]
	ds_write_b128 v16, v[92:95] offset:128
	ds_write_b128 v16, v[120:123] offset:256
	ds_write_b128 v16, v[12:15] offset:384
	v_lshrrev_b32_e32 v12, 3, v136
	v_mul_u32_u24_e32 v12, 40, v12
	v_or_b32_e32 v12, v12, v137
	v_lshlrev_b32_e32 v12, 4, v12
	v_accvgpr_write_b32 a142, v124
	v_accvgpr_write_b32 a144, v20
	;; [unrolled: 1-line block ×3, first 2 shown]
	ds_write_b128 v16, v[84:87] offset:512
	ds_write_b128 v12, v[148:151]
	ds_write_b128 v12, v[8:11] offset:128
	ds_write_b128 v12, v[36:39] offset:256
	;; [unrolled: 1-line block ×3, first 2 shown]
	v_accvgpr_write_b32 a146, v12
	ds_write_b128 v12, v[32:35] offset:512
	s_waitcnt lgkmcnt(0)
	; wave barrier
	s_waitcnt lgkmcnt(0)
	ds_read_b128 v[20:23], v168
	ds_read_b128 v[132:135], v168 offset:3200
	ds_read_b128 v[128:131], v168 offset:6400
	;; [unrolled: 1-line block ×20, first 2 shown]
	v_accvgpr_write_b32 a143, v24
	v_cmp_gt_u16_e64 s[2:3], 32, v214
                                        ; implicit-def: $vgpr24_vgpr25
                                        ; implicit-def: $vgpr28_vgpr29
	s_and_saveexec_b64 s[12:13], s[2:3]
	s_cbranch_execz .LBB0_17
; %bb.16:
	ds_read_b128 v[8:11], v168 offset:2688
	ds_read_b128 v[36:39], v168 offset:5888
	;; [unrolled: 1-line block ×7, first 2 shown]
.LBB0_17:
	s_or_b64 exec, exec, s[12:13]
	v_subrev_u32_e32 v137, 40, v214
	v_cmp_gt_u16_e32 vcc, 40, v214
	s_movk_i32 s13, 0xcd
	s_movk_i32 s12, 0x60
	v_cndmask_b32_e32 v137, v137, v214, vcc
	v_mul_hi_i32_i24_e32 v145, 0x60, v137
	v_mul_i32_i24_e32 v144, 0x60, v137
	v_lshl_add_u64 v[146:147], s[0:1], 0, v[144:145]
	global_load_dwordx4 v[148:151], v[146:147], off offset:656
	global_load_dwordx4 v[152:155], v[146:147], off offset:640
	;; [unrolled: 1-line block ×4, first 2 shown]
	v_mov_b64_e32 v[164:165], s[0:1]
	s_mov_b32 s20, 0xe976ee23
	s_mov_b32 s18, 0x429ad128
	;; [unrolled: 1-line block ×16, first 2 shown]
	v_cmp_lt_u16_e32 vcc, 39, v214
	s_waitcnt vmcnt(3)
	v_accvgpr_write_b32 a167, v151
	s_waitcnt vmcnt(2)
	v_accvgpr_write_b32 a171, v155
	;; [unrolled: 2-line block ×3, first 2 shown]
	s_waitcnt vmcnt(0) lgkmcnt(14)
	v_mul_f64 v[144:145], v[134:135], v[162:163]
	v_fma_f64 v[144:145], v[132:133], v[160:161], -v[144:145]
	v_mul_f64 v[132:133], v[132:133], v[162:163]
	v_fmac_f64_e32 v[132:133], v[134:135], v[160:161]
	v_mul_f64 v[134:135], v[130:131], v[158:159]
	v_fma_f64 v[134:135], v[128:129], v[156:157], -v[134:135]
	v_mul_f64 v[128:129], v[128:129], v[158:159]
	v_fmac_f64_e32 v[128:129], v[130:131], v[156:157]
	;; [unrolled: 4-line block ×3, first 2 shown]
	v_mul_f64 v[126:127], v[94:95], v[150:151]
	v_accvgpr_write_b32 a174, v158
	v_accvgpr_write_b32 a173, v157
	;; [unrolled: 1-line block ×6, first 2 shown]
	v_fma_f64 v[126:127], v[92:93], v[148:149], -v[126:127]
	v_mul_f64 v[92:93], v[92:93], v[150:151]
	v_accvgpr_write_b32 a166, v150
	v_accvgpr_write_b32 a165, v149
	;; [unrolled: 1-line block ×3, first 2 shown]
	global_load_dwordx4 v[150:153], v[146:147], off offset:688
	global_load_dwordx4 v[154:157], v[146:147], off offset:672
	v_fmac_f64_e32 v[92:93], v[94:95], v[148:149]
	v_accvgpr_write_b32 a183, v163
	v_accvgpr_write_b32 a182, v162
	;; [unrolled: 1-line block ×4, first 2 shown]
	s_waitcnt vmcnt(1)
	v_mul_f64 v[148:149], v[84:85], v[152:153]
	s_waitcnt vmcnt(0)
	v_mul_f64 v[94:95], v[90:91], v[156:157]
	v_fma_f64 v[94:95], v[88:89], v[154:155], -v[94:95]
	v_mul_f64 v[146:147], v[88:89], v[156:157]
	v_mul_f64 v[88:89], v[86:87], v[152:153]
	v_fmac_f64_e32 v[146:147], v[90:91], v[154:155]
	v_fma_f64 v[90:91], v[84:85], v[150:151], -v[88:89]
	v_mul_lo_u16_sdwa v84, v142, s13 dst_sel:DWORD dst_unused:UNUSED_PAD src0_sel:BYTE_0 src1_sel:DWORD
	v_lshrrev_b16_e32 v139, 13, v84
	v_mul_lo_u16_e32 v84, 40, v139
	v_sub_u16_e32 v84, v142, v84
	v_accvgpr_write_b32 a179, v153
	v_and_b32_e32 v141, 0xff, v84
	v_accvgpr_write_b32 a195, v157
	v_accvgpr_write_b32 a178, v152
	;; [unrolled: 1-line block ×4, first 2 shown]
	v_fmac_f64_e32 v[148:149], v[86:87], v[150:151]
	v_mad_u64_u32 v[150:151], s[14:15], v141, s12, v[164:165]
	v_accvgpr_write_b32 a194, v156
	v_accvgpr_write_b32 a193, v155
	;; [unrolled: 1-line block ×3, first 2 shown]
	global_load_dwordx4 v[152:155], v[150:151], off offset:656
	global_load_dwordx4 v[156:159], v[150:151], off offset:640
	;; [unrolled: 1-line block ×4, first 2 shown]
	s_waitcnt vmcnt(3)
	v_accvgpr_write_b32 a199, v155
	v_accvgpr_write_b32 a198, v154
	v_accvgpr_write_b32 a197, v153
	s_waitcnt vmcnt(0) lgkmcnt(12)
	v_mul_f64 v[84:85], v[82:83], v[88:89]
	v_accvgpr_write_b32 a211, v89
	v_fma_f64 v[84:85], v[80:81], v[86:87], -v[84:85]
	v_mul_f64 v[80:81], v[80:81], v[88:89]
	v_accvgpr_write_b32 a210, v88
	v_accvgpr_write_b32 a209, v87
	;; [unrolled: 1-line block ×3, first 2 shown]
	s_waitcnt lgkmcnt(10)
	v_mul_f64 v[88:89], v[74:75], v[158:159]
	v_fma_f64 v[88:89], v[72:73], v[156:157], -v[88:89]
	v_mul_f64 v[72:73], v[72:73], v[158:159]
	v_fmac_f64_e32 v[72:73], v[74:75], v[156:157]
	s_waitcnt lgkmcnt(9)
	v_mul_f64 v[74:75], v[78:79], v[154:155]
	v_fmac_f64_e32 v[80:81], v[82:83], v[86:87]
	v_mul_f64 v[82:83], v[122:123], v[162:163]
	v_mul_f64 v[86:87], v[120:121], v[162:163]
	v_fma_f64 v[74:75], v[76:77], v[152:153], -v[74:75]
	v_mul_f64 v[76:77], v[76:77], v[154:155]
	v_fma_f64 v[82:83], v[120:121], v[160:161], -v[82:83]
	v_fmac_f64_e32 v[86:87], v[122:123], v[160:161]
	v_accvgpr_write_b32 a196, v152
	v_fmac_f64_e32 v[76:77], v[78:79], v[152:153]
	global_load_dwordx4 v[120:123], v[150:151], off offset:688
	s_nop 0
	global_load_dwordx4 v[150:153], v[150:151], off offset:672
	v_accvgpr_write_b32 a203, v159
	v_accvgpr_write_b32 a207, v163
	v_accvgpr_write_b32 a202, v158
	v_accvgpr_write_b32 a201, v157
	v_accvgpr_write_b32 a200, v156
	v_accvgpr_write_b32 a206, v162
	v_accvgpr_write_b32 a205, v161
	v_accvgpr_write_b32 a204, v160
	s_waitcnt vmcnt(1)
	v_accvgpr_write_b32 a215, v123
	s_waitcnt vmcnt(0) lgkmcnt(8)
	v_mul_f64 v[78:79], v[66:67], v[152:153]
	v_fma_f64 v[78:79], v[64:65], v[150:151], -v[78:79]
	v_mul_f64 v[64:65], v[64:65], v[152:153]
	v_fmac_f64_e32 v[64:65], v[66:67], v[150:151]
	s_waitcnt lgkmcnt(7)
	v_mul_f64 v[66:67], v[70:71], v[122:123]
	v_fma_f64 v[66:67], v[68:69], v[120:121], -v[66:67]
	v_mul_f64 v[68:69], v[68:69], v[122:123]
	v_fmac_f64_e32 v[68:69], v[70:71], v[120:121]
	v_mul_lo_u16_sdwa v70, v140, s13 dst_sel:DWORD dst_unused:UNUSED_PAD src0_sel:BYTE_0 src1_sel:DWORD
	v_lshrrev_b16_e32 v143, 13, v70
	v_mul_lo_u16_e32 v70, 40, v143
	v_sub_u16_e32 v70, v140, v70
	v_and_b32_e32 v169, 0xff, v70
	v_accvgpr_write_b32 a219, v153
	v_mad_u64_u32 v[158:159], s[14:15], v169, s12, v[164:165]
	v_accvgpr_write_b32 a218, v152
	v_accvgpr_write_b32 a217, v151
	v_accvgpr_write_b32 a216, v150
	global_load_dwordx4 v[160:163], v[158:159], off offset:656
	global_load_dwordx4 v[170:173], v[158:159], off offset:640
	;; [unrolled: 1-line block ×4, first 2 shown]
	v_accvgpr_write_b32 a214, v122
	v_accvgpr_write_b32 a213, v121
	;; [unrolled: 1-line block ×3, first 2 shown]
	s_mov_b32 s14, 0x37e14327
	s_mov_b32 s15, 0x3fe948f6
	s_waitcnt vmcnt(3)
	v_accvgpr_write_b32 a223, v163
	v_accvgpr_write_b32 a222, v162
	s_waitcnt vmcnt(1) lgkmcnt(4)
	v_mul_f64 v[150:151], v[56:57], v[154:155]
	s_waitcnt vmcnt(0)
	v_mul_f64 v[70:71], v[62:63], v[176:177]
	v_fma_f64 v[70:71], v[60:61], v[174:175], -v[70:71]
	v_mul_f64 v[120:121], v[60:61], v[176:177]
	v_mul_f64 v[60:61], v[58:59], v[154:155]
	v_fma_f64 v[122:123], v[56:57], v[152:153], -v[60:61]
	v_accvgpr_write_b32 a231, v155
	s_waitcnt lgkmcnt(3)
	v_mul_f64 v[56:57], v[54:55], v[172:173]
	v_accvgpr_write_b32 a230, v154
	v_accvgpr_write_b32 a229, v153
	;; [unrolled: 1-line block ×3, first 2 shown]
	v_fmac_f64_e32 v[150:151], v[58:59], v[152:153]
	v_fma_f64 v[152:153], v[52:53], v[170:171], -v[56:57]
	v_mul_f64 v[154:155], v[52:53], v[172:173]
	s_waitcnt lgkmcnt(2)
	v_mul_f64 v[52:53], v[50:51], v[162:163]
	v_fmac_f64_e32 v[154:155], v[54:55], v[170:171]
	v_fma_f64 v[156:157], v[48:49], v[160:161], -v[52:53]
	global_load_dwordx4 v[52:55], v[158:159], off offset:688
	global_load_dwordx4 v[56:59], v[158:159], off offset:672
	v_mul_f64 v[48:49], v[48:49], v[162:163]
	v_fmac_f64_e32 v[48:49], v[50:51], v[160:161]
	v_accvgpr_write_b32 a221, v161
	v_accvgpr_write_b32 a220, v160
	v_fmac_f64_e32 v[120:121], v[62:63], v[174:175]
	v_accvgpr_write_b32 a227, v173
	v_accvgpr_write_b32 a235, v177
	;; [unrolled: 1-line block ×8, first 2 shown]
	s_waitcnt vmcnt(1) lgkmcnt(0)
	v_mul_f64 v[162:163], v[40:41], v[54:55]
	s_waitcnt vmcnt(0)
	v_mul_f64 v[50:51], v[46:47], v[58:59]
	v_fma_f64 v[50:51], v[44:45], v[56:57], -v[50:51]
	v_mul_f64 v[158:159], v[44:45], v[58:59]
	v_mul_f64 v[44:45], v[42:43], v[54:55]
	v_fma_f64 v[160:161], v[40:41], v[52:53], -v[44:45]
	v_mul_lo_u16_sdwa v40, v138, s13 dst_sel:DWORD dst_unused:UNUSED_PAD src0_sel:BYTE_0 src1_sel:DWORD
	v_lshrrev_b16_e32 v40, 13, v40
	v_mul_lo_u16_e32 v40, 40, v40
	v_sub_u16_e32 v40, v138, v40
	v_and_b32_e32 v178, 0xff, v40
	v_accvgpr_write_b32 a243, v59
	v_accvgpr_write_b32 a239, v55
	;; [unrolled: 1-line block ×3, first 2 shown]
	v_mad_u64_u32 v[40:41], s[12:13], v178, s12, v[164:165]
	v_accvgpr_write_b32 a242, v58
	v_accvgpr_write_b32 a241, v57
	;; [unrolled: 1-line block ×3, first 2 shown]
	v_fmac_f64_e32 v[158:159], v[46:47], v[56:57]
	v_accvgpr_write_b32 a238, v54
	v_accvgpr_write_b32 a237, v53
	;; [unrolled: 1-line block ×3, first 2 shown]
	v_fmac_f64_e32 v[162:163], v[42:43], v[52:53]
	global_load_dwordx4 v[44:47], v[40:41], off offset:656
	global_load_dwordx4 v[52:55], v[40:41], off offset:640
	;; [unrolled: 1-line block ×4, first 2 shown]
	s_mov_b32 s12, 0x36b3c0b5
	s_mov_b32 s13, 0x3fac98ee
	s_waitcnt vmcnt(3)
	v_mul_f64 v[226:227], v[0:1], v[46:47]
	s_waitcnt vmcnt(2)
	v_mul_f64 v[222:223], v[32:33], v[54:55]
	;; [unrolled: 2-line block ×4, first 2 shown]
	v_fma_f64 v[164:165], v[36:37], v[60:61], -v[42:43]
	v_mul_f64 v[166:167], v[36:37], v[62:63]
	v_mul_f64 v[36:37], v[6:7], v[58:59]
	v_fma_f64 v[216:217], v[4:5], v[56:57], -v[36:37]
	v_mul_f64 v[4:5], v[34:35], v[54:55]
	v_fma_f64 v[220:221], v[32:33], v[52:53], -v[4:5]
	v_mul_f64 v[4:5], v[2:3], v[46:47]
	v_fmac_f64_e32 v[222:223], v[34:35], v[52:53]
	v_fma_f64 v[224:225], v[0:1], v[44:45], -v[4:5]
	v_fmac_f64_e32 v[226:227], v[2:3], v[44:45]
	global_load_dwordx4 v[2:5], v[40:41], off offset:688
	global_load_dwordx4 v[32:35], v[40:41], off offset:672
	v_accvgpr_write_b32 a155, v55
	v_accvgpr_write_b32 a151, v47
	v_add_f64 v[36:37], v[126:127], -v[130:131]
	v_fmac_f64_e32 v[166:167], v[38:39], v[60:61]
	v_accvgpr_write_b32 a159, v59
	v_accvgpr_write_b32 a154, v54
	;; [unrolled: 1-line block ×7, first 2 shown]
	v_add_f64 v[38:39], v[92:93], -v[124:125]
	v_accvgpr_write_b32 a163, v63
	v_accvgpr_write_b32 a158, v58
	;; [unrolled: 1-line block ×4, first 2 shown]
	v_fmac_f64_e32 v[218:219], v[6:7], v[56:57]
	v_add_f64 v[6:7], v[132:133], -v[148:149]
	v_accvgpr_write_b32 a162, v62
	v_accvgpr_write_b32 a161, v61
	;; [unrolled: 1-line block ×3, first 2 shown]
	v_add_f64 v[62:63], v[72:73], v[76:77]
	s_waitcnt lgkmcnt(0)
	; wave barrier
	s_waitcnt vmcnt(1)
	v_mul_f64 v[176:177], v[28:29], v[4:5]
	s_waitcnt vmcnt(0)
	v_mul_f64 v[0:1], v[26:27], v[34:35]
	v_fma_f64 v[170:171], v[24:25], v[32:33], -v[0:1]
	v_mul_f64 v[0:1], v[30:31], v[4:5]
	v_mul_f64 v[172:173], v[24:25], v[34:35]
	v_accvgpr_write_b32 a191, v35
	v_fma_f64 v[174:175], v[28:29], v[2:3], -v[0:1]
	v_accvgpr_write_b32 a187, v5
	v_add_f64 v[0:1], v[144:145], v[90:91]
	v_add_f64 v[24:25], v[134:135], v[94:95]
	v_accvgpr_write_b32 a190, v34
	v_accvgpr_write_b32 a189, v33
	;; [unrolled: 1-line block ×3, first 2 shown]
	v_fmac_f64_e32 v[172:173], v[26:27], v[32:33]
	v_accvgpr_write_b32 a186, v4
	v_accvgpr_write_b32 a185, v3
	;; [unrolled: 1-line block ×3, first 2 shown]
	v_fmac_f64_e32 v[176:177], v[30:31], v[2:3]
	v_add_f64 v[2:3], v[132:133], v[148:149]
	v_add_f64 v[26:27], v[128:129], v[146:147]
	v_add_f64 v[28:29], v[134:135], -v[94:95]
	v_add_f64 v[32:33], v[130:131], v[126:127]
	v_add_f64 v[40:41], v[24:25], v[0:1]
	v_add_f64 v[4:5], v[144:145], -v[90:91]
	v_add_f64 v[30:31], v[128:129], -v[146:147]
	v_add_f64 v[34:35], v[124:125], v[92:93]
	v_add_f64 v[42:43], v[26:27], v[2:3]
	v_add_f64 v[44:45], v[24:25], -v[0:1]
	v_add_f64 v[52:53], v[0:1], -v[32:33]
	v_add_f64 v[24:25], v[32:33], -v[24:25]
	v_add_f64 v[0:1], v[36:37], v[28:29]
	v_add_f64 v[32:33], v[32:33], v[40:41]
	v_add_f64 v[46:47], v[26:27], -v[2:3]
	v_add_f64 v[54:55], v[2:3], -v[34:35]
	;; [unrolled: 1-line block ×3, first 2 shown]
	v_add_f64 v[2:3], v[38:39], v[30:31]
	v_add_f64 v[56:57], v[36:37], -v[28:29]
	v_add_f64 v[36:37], v[4:5], -v[36:37]
	v_add_f64 v[28:29], v[28:29], -v[4:5]
	v_add_f64 v[34:35], v[34:35], v[42:43]
	v_add_f64 v[4:5], v[0:1], v[4:5]
	;; [unrolled: 1-line block ×3, first 2 shown]
	v_add_f64 v[58:59], v[38:39], -v[30:31]
	v_add_f64 v[38:39], v[6:7], -v[38:39]
	v_add_f64 v[30:31], v[30:31], -v[6:7]
	v_add_f64 v[6:7], v[2:3], v[6:7]
	v_add_f64 v[2:3], v[22:23], v[34:35]
	v_mov_b64_e32 v[60:61], v[0:1]
	v_mul_f64 v[20:21], v[52:53], s[14:15]
	v_mul_f64 v[22:23], v[54:55], s[14:15]
	;; [unrolled: 1-line block ×7, first 2 shown]
	v_fmac_f64_e32 v[60:61], s[22:23], v[32:33]
	v_mov_b64_e32 v[32:33], v[2:3]
	v_mul_f64 v[56:57], v[28:29], s[18:19]
	v_fmac_f64_e32 v[32:33], s[22:23], v[34:35]
	v_fma_f64 v[34:35], v[44:45], s[24:25], -v[40:41]
	v_fma_f64 v[40:41], v[46:47], s[24:25], -v[42:43]
	;; [unrolled: 1-line block ×3, first 2 shown]
	v_fmac_f64_e32 v[20:21], s[12:13], v[24:25]
	v_fma_f64 v[24:25], v[46:47], s[26:27], -v[22:23]
	v_fmac_f64_e32 v[22:23], s[12:13], v[26:27]
	v_fma_f64 v[44:45], v[28:29], s[18:19], -v[52:53]
	;; [unrolled: 2-line block ×4, first 2 shown]
	v_fma_f64 v[36:37], v[36:37], s[34:35], -v[56:57]
	v_add_f64 v[56:57], v[22:23], v[32:33]
	v_add_f64 v[30:31], v[34:35], v[60:61]
	;; [unrolled: 1-line block ×4, first 2 shown]
	v_fmac_f64_e32 v[52:53], s[30:31], v[4:5]
	v_fmac_f64_e32 v[38:39], s[30:31], v[6:7]
	v_add_f64 v[46:47], v[20:21], v[60:61]
	v_add_f64 v[42:43], v[24:25], v[32:33]
	v_fmac_f64_e32 v[54:55], s[30:31], v[6:7]
	v_fmac_f64_e32 v[44:45], s[30:31], v[4:5]
	;; [unrolled: 1-line block ×4, first 2 shown]
	v_add_f64 v[6:7], v[56:57], -v[52:53]
	v_add_f64 v[20:21], v[38:39], v[40:41]
	v_add_f64 v[32:33], v[40:41], -v[38:39]
	v_add_f64 v[38:39], v[52:53], v[56:57]
	v_add_f64 v[40:41], v[84:85], v[66:67]
	;; [unrolled: 1-line block ×4, first 2 shown]
	v_add_f64 v[22:23], v[42:43], -v[36:37]
	v_add_f64 v[24:25], v[30:31], -v[28:29]
	v_add_f64 v[26:27], v[44:45], v[34:35]
	v_add_f64 v[28:29], v[28:29], v[30:31]
	v_add_f64 v[30:31], v[34:35], -v[44:45]
	v_add_f64 v[34:35], v[36:37], v[42:43]
	v_add_f64 v[36:37], v[46:47], -v[54:55]
	;; [unrolled: 2-line block ×3, first 2 shown]
	v_add_f64 v[54:55], v[86:87], v[64:65]
	v_add_f64 v[60:61], v[88:89], v[74:75]
	;; [unrolled: 1-line block ×3, first 2 shown]
	v_add_f64 v[44:45], v[84:85], -v[66:67]
	v_add_f64 v[58:59], v[86:87], -v[64:65]
	;; [unrolled: 1-line block ×4, first 2 shown]
	v_add_f64 v[72:73], v[54:55], v[42:43]
	v_add_f64 v[74:75], v[52:53], -v[40:41]
	v_add_f64 v[40:41], v[40:41], -v[60:61]
	;; [unrolled: 1-line block ×3, first 2 shown]
	v_add_f64 v[60:61], v[60:61], v[68:69]
	v_add_f64 v[56:57], v[82:83], -v[78:79]
	v_add_f64 v[76:77], v[54:55], -v[42:43]
	;; [unrolled: 1-line block ×4, first 2 shown]
	v_add_f64 v[62:63], v[62:63], v[72:73]
	v_add_f64 v[16:17], v[16:17], v[60:61]
	;; [unrolled: 1-line block ×4, first 2 shown]
	v_add_f64 v[82:83], v[64:65], -v[56:57]
	v_add_f64 v[84:85], v[66:67], -v[58:59]
	;; [unrolled: 1-line block ×4, first 2 shown]
	v_add_f64 v[18:19], v[18:19], v[62:63]
	v_mov_b64_e32 v[86:87], v[16:17]
	v_add_f64 v[64:65], v[44:45], -v[64:65]
	v_add_f64 v[66:67], v[46:47], -v[66:67]
	v_add_f64 v[44:45], v[78:79], v[44:45]
	v_add_f64 v[46:47], v[80:81], v[46:47]
	v_mul_f64 v[40:41], v[40:41], s[14:15]
	v_mul_f64 v[42:43], v[42:43], s[14:15]
	;; [unrolled: 1-line block ×8, first 2 shown]
	v_fmac_f64_e32 v[86:87], s[22:23], v[60:61]
	v_mov_b64_e32 v[60:61], v[18:19]
	v_fmac_f64_e32 v[60:61], s[22:23], v[62:63]
	v_fma_f64 v[62:63], v[74:75], s[24:25], -v[68:69]
	v_fma_f64 v[68:69], v[76:77], s[24:25], -v[72:73]
	;; [unrolled: 1-line block ×3, first 2 shown]
	v_fmac_f64_e32 v[40:41], s[12:13], v[52:53]
	v_fma_f64 v[52:53], v[76:77], s[26:27], -v[42:43]
	v_fma_f64 v[74:75], v[56:57], s[18:19], -v[78:79]
	v_fmac_f64_e32 v[78:79], s[28:29], v[64:65]
	v_fma_f64 v[56:57], v[58:59], s[18:19], -v[80:81]
	v_fmac_f64_e32 v[80:81], s[28:29], v[66:67]
	v_fma_f64 v[64:65], v[64:65], s[34:35], -v[82:83]
	v_fma_f64 v[66:67], v[66:67], s[34:35], -v[84:85]
	v_fmac_f64_e32 v[42:43], s[12:13], v[54:55]
	v_add_f64 v[76:77], v[40:41], v[86:87]
	v_add_f64 v[58:59], v[62:63], v[86:87]
	;; [unrolled: 1-line block ×5, first 2 shown]
	v_fmac_f64_e32 v[80:81], s[30:31], v[46:47]
	v_fmac_f64_e32 v[74:75], s[30:31], v[44:45]
	;; [unrolled: 1-line block ×5, first 2 shown]
	v_add_f64 v[82:83], v[42:43], v[60:61]
	v_fmac_f64_e32 v[78:79], s[30:31], v[44:45]
	v_add_f64 v[40:41], v[80:81], v[76:77]
	v_add_f64 v[44:45], v[66:67], v[68:69]
	v_add_f64 v[46:47], v[72:73], -v[64:65]
	v_add_f64 v[52:53], v[58:59], -v[56:57]
	v_add_f64 v[54:55], v[74:75], v[62:63]
	v_add_f64 v[56:57], v[56:57], v[58:59]
	v_add_f64 v[58:59], v[62:63], -v[74:75]
	v_add_f64 v[60:61], v[68:69], -v[66:67]
	v_add_f64 v[62:63], v[64:65], v[72:73]
	v_add_f64 v[64:65], v[76:77], -v[80:81]
	v_add_f64 v[68:69], v[70:71], v[160:161]
	v_add_f64 v[76:77], v[122:123], v[50:51]
	v_add_f64 v[42:43], v[82:83], -v[78:79]
	v_add_f64 v[66:67], v[78:79], v[82:83]
	v_add_f64 v[72:73], v[120:121], v[162:163]
	;; [unrolled: 1-line block ×5, first 2 shown]
	v_add_f64 v[50:51], v[122:123], -v[50:51]
	v_add_f64 v[84:85], v[154:155], v[48:49]
	v_add_f64 v[86:87], v[156:157], -v[152:153]
	v_add_f64 v[90:91], v[78:79], v[72:73]
	v_add_f64 v[92:93], v[76:77], -v[68:69]
	v_add_f64 v[68:69], v[68:69], -v[82:83]
	;; [unrolled: 1-line block ×3, first 2 shown]
	v_add_f64 v[82:83], v[82:83], v[88:89]
	v_add_f64 v[74:75], v[120:121], -v[162:163]
	v_add_f64 v[80:81], v[150:151], -v[158:159]
	;; [unrolled: 1-line block ×7, first 2 shown]
	v_add_f64 v[84:85], v[84:85], v[90:91]
	v_add_f64 v[12:13], v[12:13], v[82:83]
	v_add_f64 v[70:71], v[70:71], -v[160:161]
	v_add_f64 v[122:123], v[48:49], v[80:81]
	v_add_f64 v[126:127], v[48:49], -v[80:81]
	v_add_f64 v[80:81], v[80:81], -v[74:75]
	v_add_f64 v[14:15], v[14:15], v[84:85]
	v_mul_f64 v[146:147], v[124:125], s[20:21]
	v_mov_b64_e32 v[124:125], v[12:13]
	v_add_f64 v[120:121], v[86:87], v[50:51]
	v_add_f64 v[86:87], v[70:71], -v[86:87]
	v_add_f64 v[48:49], v[74:75], -v[48:49]
	;; [unrolled: 1-line block ×3, first 2 shown]
	v_add_f64 v[74:75], v[122:123], v[74:75]
	v_mul_f64 v[68:69], v[68:69], s[14:15]
	v_mul_f64 v[72:73], v[72:73], s[14:15]
	;; [unrolled: 1-line block ×6, first 2 shown]
	v_fmac_f64_e32 v[124:125], s[22:23], v[82:83]
	v_mov_b64_e32 v[82:83], v[14:15]
	v_add_f64 v[70:71], v[120:121], v[70:71]
	v_mul_f64 v[120:121], v[50:51], s[18:19]
	v_fmac_f64_e32 v[82:83], s[22:23], v[84:85]
	v_fma_f64 v[84:85], v[92:93], s[24:25], -v[88:89]
	v_fma_f64 v[88:89], v[94:95], s[24:25], -v[90:91]
	;; [unrolled: 1-line block ×3, first 2 shown]
	v_fmac_f64_e32 v[68:69], s[12:13], v[76:77]
	v_fma_f64 v[76:77], v[94:95], s[26:27], -v[72:73]
	v_fmac_f64_e32 v[72:73], s[12:13], v[78:79]
	v_fma_f64 v[50:51], v[50:51], s[18:19], -v[146:147]
	;; [unrolled: 2-line block ×4, first 2 shown]
	v_fma_f64 v[80:81], v[86:87], s[34:35], -v[120:121]
	v_add_f64 v[72:73], v[72:73], v[82:83]
	v_add_f64 v[86:87], v[88:89], v[82:83]
	v_add_f64 v[88:89], v[90:91], v[124:125]
	v_fmac_f64_e32 v[146:147], s[30:31], v[70:71]
	v_fmac_f64_e32 v[50:51], s[30:31], v[70:71]
	;; [unrolled: 1-line block ×3, first 2 shown]
	v_add_f64 v[68:69], v[68:69], v[124:125]
	v_add_f64 v[84:85], v[84:85], v[124:125]
	;; [unrolled: 1-line block ×3, first 2 shown]
	v_fmac_f64_e32 v[144:145], s[30:31], v[74:75]
	v_fmac_f64_e32 v[78:79], s[30:31], v[74:75]
	v_fmac_f64_e32 v[80:81], s[30:31], v[70:71]
	v_add_f64 v[94:95], v[72:73], -v[146:147]
	v_add_f64 v[120:121], v[48:49], v[88:89]
	v_add_f64 v[126:127], v[50:51], v[86:87]
	v_add_f64 v[130:131], v[86:87], -v[50:51]
	v_add_f64 v[132:133], v[88:89], -v[48:49]
	v_add_f64 v[146:147], v[146:147], v[72:73]
	v_add_f64 v[48:49], v[164:165], v[174:175]
	;; [unrolled: 1-line block ×6, first 2 shown]
	v_add_f64 v[122:123], v[76:77], -v[80:81]
	v_add_f64 v[124:125], v[84:85], -v[78:79]
	v_add_f64 v[128:129], v[78:79], v[84:85]
	v_add_f64 v[134:135], v[80:81], v[76:77]
	v_add_f64 v[144:145], v[68:69], -v[144:145]
	v_add_f64 v[68:69], v[164:165], -v[174:175]
	;; [unrolled: 1-line block ×4, first 2 shown]
	v_add_f64 v[80:81], v[220:221], v[224:225]
	v_add_f64 v[82:83], v[222:223], v[226:227]
	v_add_f64 v[84:85], v[224:225], -v[220:221]
	v_add_f64 v[86:87], v[226:227], -v[222:223]
	v_add_f64 v[88:89], v[72:73], v[48:49]
	v_add_f64 v[90:91], v[74:75], v[50:51]
	v_add_f64 v[70:71], v[166:167], -v[176:177]
	v_add_f64 v[148:149], v[72:73], -v[48:49]
	;; [unrolled: 1-line block ×7, first 2 shown]
	v_add_f64 v[152:153], v[84:85], v[76:77]
	v_add_f64 v[154:155], v[86:87], v[78:79]
	v_add_f64 v[156:157], v[84:85], -v[76:77]
	v_add_f64 v[76:77], v[76:77], -v[68:69]
	v_add_f64 v[80:81], v[80:81], v[88:89]
	v_add_f64 v[82:83], v[82:83], v[90:91]
	v_add_f64 v[158:159], v[86:87], -v[78:79]
	v_add_f64 v[84:85], v[68:69], -v[84:85]
	;; [unrolled: 1-line block ×4, first 2 shown]
	v_add_f64 v[154:155], v[154:155], v[70:71]
	v_add_f64 v[8:9], v[8:9], v[80:81]
	;; [unrolled: 1-line block ×3, first 2 shown]
	v_mul_f64 v[48:49], v[48:49], s[14:15]
	v_mul_f64 v[50:51], v[50:51], s[14:15]
	;; [unrolled: 1-line block ×6, first 2 shown]
	v_add_f64 v[152:153], v[152:153], v[68:69]
	v_mul_f64 v[68:69], v[158:159], s[20:21]
	v_mul_f64 v[158:159], v[78:79], s[18:19]
	v_fma_f64 v[160:161], s[22:23], v[80:81], v[8:9]
	v_fma_f64 v[162:163], s[22:23], v[82:83], v[10:11]
	;; [unrolled: 1-line block ×3, first 2 shown]
	v_fma_f64 v[164:165], v[148:149], s[24:25], -v[70:71]
	v_fma_f64 v[88:89], v[150:151], s[24:25], -v[88:89]
	;; [unrolled: 1-line block ×5, first 2 shown]
	v_fma_f64 v[70:71], s[28:29], v[84:85], v[90:91]
	v_fma_f64 v[82:83], v[76:77], s[18:19], -v[90:91]
	v_fma_f64 v[76:77], v[86:87], s[34:35], -v[158:159]
	v_add_f64 v[90:91], v[88:89], v[162:163]
	v_add_f64 v[88:89], v[148:149], v[162:163]
	v_fmac_f64_e32 v[80:81], s[30:31], v[152:153]
	v_fmac_f64_e32 v[50:51], s[12:13], v[74:75]
	v_add_f64 v[84:85], v[48:49], v[160:161]
	v_fmac_f64_e32 v[76:77], s[30:31], v[154:155]
	v_add_f64 v[150:151], v[80:81], v[88:89]
	v_fma_f64 v[78:79], v[78:79], s[18:19], -v[68:69]
	v_fmac_f64_e32 v[68:69], s[28:29], v[86:87]
	v_add_f64 v[74:75], v[50:51], v[162:163]
	v_fmac_f64_e32 v[70:71], s[30:31], v[152:153]
	v_add_f64 v[148:149], v[84:85], -v[76:77]
	v_accvgpr_write_b32 a251, v151
	v_add_f64 v[72:73], v[72:73], v[160:161]
	v_fmac_f64_e32 v[68:69], s[30:31], v[154:155]
	v_accvgpr_write_b32 a250, v150
	v_accvgpr_write_b32 a249, v149
	;; [unrolled: 1-line block ×3, first 2 shown]
	v_add_f64 v[150:151], v[70:71], v[74:75]
	v_add_f64 v[148:149], v[72:73], -v[68:69]
	v_accvgpr_write_b32 a255, v151
	v_accvgpr_write_b32 a254, v150
	;; [unrolled: 1-line block ×4, first 2 shown]
	v_mov_b32_e32 v148, 0x118
	v_cndmask_b32_e32 v148, 0, v148, vcc
	v_add_lshl_u32 v137, v137, v148, 4
	ds_write_b128 v137, v[0:3]
	ds_write_b128 v137, v[4:7] offset:640
	ds_write_b128 v137, v[20:23] offset:1280
	;; [unrolled: 1-line block ×5, first 2 shown]
	v_mul_u32_u24_e32 v0, 0x118, v139
	v_add_lshl_u32 v0, v0, v141, 4
	v_add_f64 v[86:87], v[164:165], v[160:161]
	v_fmac_f64_e32 v[82:83], s[30:31], v[152:153]
	v_fmac_f64_e32 v[78:79], s[30:31], v[154:155]
	ds_write_b128 v137, v[36:39] offset:3840
	ds_write_b128 v0, v[16:19]
	ds_write_b128 v0, v[40:43] offset:640
	ds_write_b128 v0, v[44:47] offset:1280
	;; [unrolled: 1-line block ×5, first 2 shown]
	v_accvgpr_write_b32 a18, v0
	ds_write_b128 v0, v[64:67] offset:3840
	v_mul_u32_u24_e32 v0, 0x118, v143
	v_add_f64 v[48:49], v[78:79], v[86:87]
	v_add_f64 v[50:51], v[90:91], -v[82:83]
	v_accvgpr_write_b32 a147, v137
	v_add_lshl_u32 v169, v0, v169, 4
	ds_write_b128 v169, v[12:15]
	ds_write_b128 v169, v[92:95] offset:640
	ds_write_b128 v169, v[120:123] offset:1280
	;; [unrolled: 1-line block ×6, first 2 shown]
	s_and_saveexec_b64 s[12:13], s[2:3]
	s_cbranch_execz .LBB0_19
; %bb.18:
	v_lshlrev_b32_e32 v16, 4, v178
	v_add_f64 v[2:3], v[82:83], v[90:91]
	v_add_f64 v[0:1], v[86:87], -v[78:79]
	v_add_f64 v[6:7], v[88:89], -v[80:81]
	v_add_f64 v[4:5], v[76:77], v[84:85]
	v_add_f64 v[14:15], v[74:75], -v[70:71]
	v_add_f64 v[12:13], v[68:69], v[72:73]
	ds_write_b128 v16, v[8:11] offset:17920
	ds_write_b128 v16, v[12:15] offset:18560
	;; [unrolled: 1-line block ×7, first 2 shown]
.LBB0_19:
	s_or_b64 exec, exec, s[12:13]
	v_lshlrev_b32_e32 v148, 6, v214
	v_mov_b32_e32 v149, 0
	v_lshl_add_u64 v[0:1], s[0:1], 0, v[148:149]
	s_movk_i32 s22, 0x1000
	v_add_co_u32_e32 v2, vcc, s22, v0
	s_mov_b64 s[14:15], 0x1160
	s_nop 0
	v_addc_co_u32_e32 v3, vcc, 0, v1, vcc
	v_lshl_add_u64 v[0:1], v[0:1], 0, s[14:15]
	v_lshlrev_b32_e32 v148, 6, v142
	s_waitcnt lgkmcnt(0)
	; wave barrier
	s_waitcnt lgkmcnt(0)
	global_load_dwordx4 v[144:147], v[2:3], off offset:352
	global_load_dwordx4 v[232:235], v[0:1], off offset:16
	;; [unrolled: 1-line block ×4, first 2 shown]
	v_lshl_add_u64 v[0:1], s[0:1], 0, v[148:149]
	v_add_co_u32_e32 v2, vcc, s22, v0
	v_lshlrev_b32_e32 v148, 6, v140
	s_nop 0
	v_addc_co_u32_e32 v3, vcc, 0, v1, vcc
	v_lshl_add_u64 v[0:1], v[0:1], 0, s[14:15]
	global_load_dwordx4 v[240:243], v[2:3], off offset:352
	global_load_dwordx4 v[244:247], v[0:1], off offset:32
	;; [unrolled: 1-line block ×3, first 2 shown]
	ds_read_b128 v[60:63], v168
	ds_read_b128 v[56:59], v168 offset:896
	ds_read_b128 v[52:55], v168 offset:8960
	;; [unrolled: 1-line block ×3, first 2 shown]
	global_load_dwordx4 v[248:251], v[0:1], off offset:48
	v_lshl_add_u64 v[0:1], s[0:1], 0, v[148:149]
	v_add_co_u32_e32 v2, vcc, s22, v0
	v_lshlrev_b32_e32 v148, 6, v138
	s_nop 0
	v_addc_co_u32_e32 v3, vcc, 0, v1, vcc
	v_lshl_add_u64 v[20:21], s[0:1], 0, v[148:149]
	v_add_co_u32_e32 v16, vcc, s22, v20
	v_lshlrev_b32_e32 v148, 6, v136
	s_nop 0
	v_addc_co_u32_e32 v17, vcc, 0, v21, vcc
	v_lshl_add_u64 v[36:37], s[0:1], 0, v[148:149]
	global_load_dwordx4 v[4:7], v[2:3], off offset:352
	v_lshl_add_u64 v[8:9], v[0:1], 0, s[14:15]
	v_lshl_add_u64 v[24:25], v[20:21], 0, s[14:15]
	v_add_co_u32_e32 v32, vcc, s22, v36
	global_load_dwordx4 v[0:3], v[8:9], off offset:32
	global_load_dwordx4 v[12:15], v[8:9], off offset:16
	ds_read_b128 v[80:83], v168 offset:17920
	ds_read_b128 v[84:87], v168 offset:18816
	ds_read_b128 v[88:91], v168 offset:5376
	ds_read_b128 v[92:95], v168 offset:6272
	global_load_dwordx4 v[8:11], v[8:9], off offset:48
	v_addc_co_u32_e32 v33, vcc, 0, v37, vcc
	global_load_dwordx4 v[16:19], v[16:17], off offset:352
	ds_read_b128 v[120:123], v168 offset:14336
	ds_read_b128 v[140:143], v168 offset:15232
	global_load_dwordx4 v[20:23], v[24:25], off offset:32
	global_load_dwordx4 v[28:31], v[24:25], off offset:16
	ds_read_b128 v[68:71], v168 offset:1792
	ds_read_b128 v[64:67], v168 offset:2688
	;; [unrolled: 1-line block ×4, first 2 shown]
	global_load_dwordx4 v[24:27], v[24:25], off offset:48
	v_lshl_add_u64 v[40:41], v[36:37], 0, s[14:15]
	global_load_dwordx4 v[32:35], v[32:33], off offset:352
	s_nop 0
	global_load_dwordx4 v[36:39], v[40:41], off offset:32
	global_load_dwordx4 v[44:47], v[40:41], off offset:16
	ds_read_b128 v[164:167], v168 offset:19712
	ds_read_b128 v[228:231], v168 offset:20608
	;; [unrolled: 1-line block ×8, first 2 shown]
	global_load_dwordx4 v[40:43], v[40:41], off offset:48
	v_mov_b32_e32 v148, v214
	ds_read_b128 v[192:195], v168 offset:16128
	ds_read_b128 v[196:199], v168 offset:17024
	;; [unrolled: 1-line block ×3, first 2 shown]
	s_mov_b32 s14, 0x134454ff
	s_add_u32 s12, s16, 0x5780
	s_mov_b32 s15, 0x3fee6f0e
	s_mov_b32 s0, 0x4755a5e
	;; [unrolled: 1-line block ×4, first 2 shown]
	s_addc_u32 s13, s17, 0
	s_mov_b32 s1, 0x3fe2cf23
	s_mov_b32 s16, 0x372fe950
	;; [unrolled: 1-line block ×5, first 2 shown]
	s_waitcnt vmcnt(18) lgkmcnt(14)
	v_mul_f64 v[208:209], v[52:53], v[234:235]
	s_waitcnt lgkmcnt(8)
	v_mul_f64 v[132:133], v[126:127], v[146:147]
	v_fma_f64 v[236:237], v[124:125], v[144:145], -v[132:133]
	v_mul_f64 v[204:205], v[124:125], v[146:147]
	v_mul_f64 v[124:125], v[54:55], v[234:235]
	v_fma_f64 v[206:207], v[52:53], v[232:233], -v[124:125]
	s_waitcnt vmcnt(17) lgkmcnt(4)
	v_mul_f64 v[52:53], v[130:131], v[226:227]
	v_fma_f64 v[210:211], v[128:129], v[224:225], -v[52:53]
	s_waitcnt vmcnt(16)
	v_mul_f64 v[52:53], v[82:83], v[222:223]
	v_fma_f64 v[214:215], v[80:81], v[220:221], -v[52:53]
	s_waitcnt vmcnt(15)
	;; [unrolled: 3-line block ×3, first 2 shown]
	v_mul_f64 v[52:53], v[78:79], v[254:255]
	v_fma_f64 v[156:157], v[76:77], v[252:253], -v[52:53]
	v_mul_f64 v[52:53], v[122:123], v[246:247]
	v_fma_f64 v[238:239], v[120:121], v[244:245], -v[52:53]
	s_waitcnt vmcnt(12)
	v_mul_f64 v[52:53], v[86:87], v[250:251]
	v_fmac_f64_e32 v[204:205], v[126:127], v[144:145]
	v_mul_f64 v[126:127], v[76:77], v[254:255]
	v_fma_f64 v[218:219], v[84:85], v[248:249], -v[52:53]
	v_accvgpr_write_b32 a247, v147
	v_fmac_f64_e32 v[208:209], v[54:55], v[232:233]
	v_accvgpr_write_b32 a246, v146
	v_accvgpr_write_b32 a245, v145
	;; [unrolled: 1-line block ×3, first 2 shown]
	v_mul_f64 v[216:217], v[80:81], v[222:223]
	v_mul_f64 v[212:213], v[128:129], v[226:227]
	s_waitcnt vmcnt(11)
	v_mul_f64 v[52:53], v[94:95], v[6:7]
	v_fma_f64 v[134:135], v[92:93], v[4:5], -v[52:53]
	v_fmac_f64_e32 v[216:217], v[82:83], v[220:221]
	v_fmac_f64_e32 v[212:213], v[130:131], v[224:225]
	;; [unrolled: 1-line block ×3, first 2 shown]
	s_waitcnt vmcnt(9)
	v_mul_f64 v[52:53], v[152:153], v[14:15]
	v_fma_f64 v[144:145], v[150:151], v[12:13], -v[52:53]
	v_mul_f64 v[52:53], v[142:143], v[2:3]
	v_fma_f64 v[158:159], v[140:141], v[0:1], -v[52:53]
	v_mul_f64 v[140:141], v[140:141], v[2:3]
	s_waitcnt vmcnt(8)
	v_mul_f64 v[52:53], v[166:167], v[10:11]
	s_waitcnt vmcnt(6) lgkmcnt(2)
	v_mul_f64 v[76:77], v[194:195], v[22:23]
	s_waitcnt vmcnt(5)
	v_mul_f64 v[54:55], v[162:163], v[30:31]
	v_fma_f64 v[178:179], v[192:193], v[20:21], -v[76:77]
	s_waitcnt vmcnt(4)
	v_mul_f64 v[76:77], v[230:231], v[26:27]
	v_fma_f64 v[176:177], v[160:161], v[28:29], -v[54:55]
	v_mul_f64 v[54:55], v[160:161], v[30:31]
	v_fma_f64 v[180:181], v[228:229], v[24:25], -v[76:77]
	s_waitcnt vmcnt(3)
	v_mul_f64 v[76:77], v[186:187], v[34:35]
	v_fmac_f64_e32 v[54:55], v[162:163], v[28:29]
	v_fma_f64 v[162:163], v[184:185], v[32:33], -v[76:77]
	s_waitcnt vmcnt(1)
	v_mul_f64 v[76:77], v[190:191], v[46:47]
	v_fmac_f64_e32 v[140:141], v[142:143], v[0:1]
	v_fma_f64 v[182:183], v[164:165], v[8:9], -v[52:53]
	v_mul_f64 v[142:143], v[164:165], v[10:11]
	v_fma_f64 v[164:165], v[188:189], v[44:45], -v[76:77]
	s_waitcnt lgkmcnt(1)
	v_mul_f64 v[76:77], v[198:199], v[38:39]
	v_fmac_f64_e32 v[142:143], v[166:167], v[8:9]
	v_mul_f64 v[52:53], v[172:173], v[18:19]
	v_fma_f64 v[166:167], v[196:197], v[36:37], -v[76:77]
	s_waitcnt vmcnt(0) lgkmcnt(0)
	v_mul_f64 v[76:77], v[202:203], v[42:43]
	v_fma_f64 v[146:147], v[170:171], v[16:17], -v[52:53]
	v_mul_f64 v[52:53], v[170:171], v[18:19]
	v_fma_f64 v[170:171], v[200:201], v[40:41], -v[76:77]
	v_add_f64 v[76:77], v[60:61], v[236:237]
	v_add_f64 v[76:77], v[76:77], v[206:207]
	;; [unrolled: 1-line block ×5, first 2 shown]
	v_mul_f64 v[130:131], v[84:85], v[250:251]
	v_fma_f64 v[76:77], -0.5, v[76:77], v[60:61]
	v_add_f64 v[78:79], v[204:205], -v[216:217]
	v_mul_f64 v[124:125], v[88:89], v[242:243]
	v_fmac_f64_e32 v[130:131], v[86:87], v[248:249]
	v_fma_f64 v[84:85], s[14:15], v[78:79], v[76:77]
	v_add_f64 v[82:83], v[208:209], -v[212:213]
	v_add_f64 v[86:87], v[236:237], -v[206:207]
	;; [unrolled: 1-line block ×3, first 2 shown]
	v_fmac_f64_e32 v[76:77], s[18:19], v[78:79]
	v_fmac_f64_e32 v[84:85], s[0:1], v[82:83]
	v_add_f64 v[86:87], v[86:87], v[88:89]
	v_fmac_f64_e32 v[76:77], s[20:21], v[82:83]
	v_fmac_f64_e32 v[84:85], s[16:17], v[86:87]
	;; [unrolled: 1-line block ×3, first 2 shown]
	v_add_f64 v[86:87], v[236:237], v[214:215]
	v_fmac_f64_e32 v[60:61], -0.5, v[86:87]
	v_fma_f64 v[88:89], s[18:19], v[82:83], v[60:61]
	v_fmac_f64_e32 v[60:61], s[14:15], v[82:83]
	v_fmac_f64_e32 v[88:89], s[0:1], v[78:79]
	;; [unrolled: 1-line block ×3, first 2 shown]
	v_add_f64 v[78:79], v[62:63], v[204:205]
	v_add_f64 v[78:79], v[78:79], v[208:209]
	;; [unrolled: 1-line block ×3, first 2 shown]
	v_fmac_f64_e32 v[124:125], v[90:91], v[240:241]
	v_add_f64 v[86:87], v[206:207], -v[236:237]
	v_add_f64 v[90:91], v[210:211], -v[214:215]
	v_add_f64 v[82:83], v[78:79], v[216:217]
	v_add_f64 v[78:79], v[208:209], v[212:213]
	v_mul_f64 v[136:137], v[92:93], v[6:7]
	v_add_f64 v[86:87], v[86:87], v[90:91]
	v_fma_f64 v[78:79], -0.5, v[78:79], v[62:63]
	v_add_f64 v[92:93], v[236:237], -v[214:215]
	v_mul_f64 v[128:129], v[120:121], v[246:247]
	v_fmac_f64_e32 v[136:137], v[94:95], v[4:5]
	v_fmac_f64_e32 v[88:89], s[16:17], v[86:87]
	;; [unrolled: 1-line block ×3, first 2 shown]
	v_fma_f64 v[86:87], s[18:19], v[92:93], v[78:79]
	v_add_f64 v[94:95], v[206:207], -v[210:211]
	v_add_f64 v[90:91], v[204:205], -v[208:209]
	;; [unrolled: 1-line block ×3, first 2 shown]
	v_fmac_f64_e32 v[78:79], s[14:15], v[92:93]
	v_fmac_f64_e32 v[86:87], s[20:21], v[94:95]
	v_add_f64 v[90:91], v[90:91], v[120:121]
	v_fmac_f64_e32 v[78:79], s[0:1], v[94:95]
	v_fmac_f64_e32 v[86:87], s[16:17], v[90:91]
	;; [unrolled: 1-line block ×3, first 2 shown]
	v_add_f64 v[90:91], v[204:205], v[216:217]
	v_fmac_f64_e32 v[62:63], -0.5, v[90:91]
	v_fma_f64 v[90:91], s[14:15], v[94:95], v[62:63]
	v_fmac_f64_e32 v[62:63], s[18:19], v[94:95]
	v_fmac_f64_e32 v[90:91], s[20:21], v[92:93]
	;; [unrolled: 1-line block ×3, first 2 shown]
	v_add_f64 v[92:93], v[56:57], v[132:133]
	v_fmac_f64_e32 v[128:129], v[122:123], v[244:245]
	v_add_f64 v[120:121], v[208:209], -v[204:205]
	v_add_f64 v[122:123], v[212:213], -v[216:217]
	v_add_f64 v[92:93], v[92:93], v[156:157]
	v_add_f64 v[120:121], v[120:121], v[122:123]
	;; [unrolled: 1-line block ×3, first 2 shown]
	v_fmac_f64_e32 v[90:91], s[16:17], v[120:121]
	v_fmac_f64_e32 v[62:63], s[16:17], v[120:121]
	v_add_f64 v[120:121], v[92:93], v[218:219]
	v_add_f64 v[92:93], v[156:157], v[238:239]
	v_mul_f64 v[138:139], v[150:151], v[14:15]
	v_mul_f64 v[150:151], v[184:185], v[34:35]
	v_fma_f64 v[92:93], -0.5, v[92:93], v[56:57]
	v_add_f64 v[94:95], v[124:125], -v[130:131]
	v_mul_f64 v[174:175], v[228:229], v[26:27]
	v_fmac_f64_e32 v[150:151], v[186:187], v[32:33]
	v_fma_f64 v[228:229], s[14:15], v[94:95], v[92:93]
	v_add_f64 v[122:123], v[126:127], -v[128:129]
	v_add_f64 v[184:185], v[132:133], -v[156:157]
	;; [unrolled: 1-line block ×3, first 2 shown]
	v_fmac_f64_e32 v[92:93], s[18:19], v[94:95]
	v_fmac_f64_e32 v[228:229], s[0:1], v[122:123]
	v_add_f64 v[184:185], v[184:185], v[186:187]
	v_fmac_f64_e32 v[92:93], s[20:21], v[122:123]
	v_fmac_f64_e32 v[228:229], s[16:17], v[184:185]
	;; [unrolled: 1-line block ×3, first 2 shown]
	v_add_f64 v[184:185], v[132:133], v[218:219]
	v_fmac_f64_e32 v[56:57], -0.5, v[184:185]
	v_fma_f64 v[236:237], s[18:19], v[122:123], v[56:57]
	v_fmac_f64_e32 v[56:57], s[14:15], v[122:123]
	v_fmac_f64_e32 v[236:237], s[0:1], v[94:95]
	;; [unrolled: 1-line block ×3, first 2 shown]
	v_add_f64 v[94:95], v[58:59], v[124:125]
	v_add_f64 v[94:95], v[94:95], v[126:127]
	;; [unrolled: 1-line block ×3, first 2 shown]
	v_add_f64 v[184:185], v[156:157], -v[132:133]
	v_add_f64 v[186:187], v[238:239], -v[218:219]
	v_add_f64 v[122:123], v[94:95], v[130:131]
	v_add_f64 v[94:95], v[126:127], v[128:129]
	;; [unrolled: 1-line block ×3, first 2 shown]
	v_fma_f64 v[94:95], -0.5, v[94:95], v[58:59]
	v_add_f64 v[132:133], v[132:133], -v[218:219]
	v_fmac_f64_e32 v[174:175], v[230:231], v[24:25]
	v_fmac_f64_e32 v[236:237], s[16:17], v[184:185]
	;; [unrolled: 1-line block ×3, first 2 shown]
	v_fma_f64 v[230:231], s[18:19], v[132:133], v[94:95]
	v_add_f64 v[156:157], v[156:157], -v[238:239]
	v_add_f64 v[184:185], v[124:125], -v[126:127]
	v_add_f64 v[186:187], v[130:131], -v[128:129]
	v_fmac_f64_e32 v[94:95], s[14:15], v[132:133]
	v_fmac_f64_e32 v[230:231], s[20:21], v[156:157]
	v_add_f64 v[184:185], v[184:185], v[186:187]
	v_fmac_f64_e32 v[94:95], s[0:1], v[156:157]
	v_fmac_f64_e32 v[230:231], s[16:17], v[184:185]
	v_fmac_f64_e32 v[94:95], s[16:17], v[184:185]
	v_add_f64 v[184:185], v[124:125], v[130:131]
	v_fmac_f64_e32 v[58:59], -0.5, v[184:185]
	v_fma_f64 v[238:239], s[14:15], v[156:157], v[58:59]
	v_add_f64 v[124:125], v[126:127], -v[124:125]
	v_add_f64 v[126:127], v[128:129], -v[130:131]
	v_fmac_f64_e32 v[58:59], s[18:19], v[156:157]
	v_fmac_f64_e32 v[238:239], s[20:21], v[132:133]
	v_add_f64 v[124:125], v[124:125], v[126:127]
	v_fmac_f64_e32 v[58:59], s[0:1], v[132:133]
	v_fmac_f64_e32 v[238:239], s[16:17], v[124:125]
	;; [unrolled: 1-line block ×3, first 2 shown]
	v_add_f64 v[124:125], v[68:69], v[134:135]
	v_add_f64 v[124:125], v[124:125], v[144:145]
	v_add_f64 v[124:125], v[124:125], v[158:159]
	v_add_f64 v[128:129], v[124:125], v[182:183]
	v_add_f64 v[124:125], v[144:145], v[158:159]
	v_fmac_f64_e32 v[138:139], v[152:153], v[12:13]
	v_fma_f64 v[124:125], -0.5, v[124:125], v[68:69]
	v_add_f64 v[126:127], v[136:137], -v[142:143]
	v_fma_f64 v[132:133], s[14:15], v[126:127], v[124:125]
	v_add_f64 v[130:131], v[138:139], -v[140:141]
	v_add_f64 v[156:157], v[134:135], -v[144:145]
	;; [unrolled: 1-line block ×3, first 2 shown]
	v_fmac_f64_e32 v[124:125], s[18:19], v[126:127]
	v_fmac_f64_e32 v[132:133], s[0:1], v[130:131]
	v_add_f64 v[156:157], v[156:157], v[184:185]
	v_fmac_f64_e32 v[124:125], s[20:21], v[130:131]
	v_fmac_f64_e32 v[132:133], s[16:17], v[156:157]
	;; [unrolled: 1-line block ×3, first 2 shown]
	v_add_f64 v[156:157], v[134:135], v[182:183]
	v_fmac_f64_e32 v[68:69], -0.5, v[156:157]
	v_fma_f64 v[156:157], s[18:19], v[130:131], v[68:69]
	v_fmac_f64_e32 v[68:69], s[14:15], v[130:131]
	v_fmac_f64_e32 v[156:157], s[0:1], v[126:127]
	;; [unrolled: 1-line block ×3, first 2 shown]
	v_add_f64 v[126:127], v[70:71], v[136:137]
	v_add_f64 v[126:127], v[126:127], v[138:139]
	;; [unrolled: 1-line block ×3, first 2 shown]
	v_add_f64 v[184:185], v[144:145], -v[134:135]
	v_add_f64 v[186:187], v[158:159], -v[182:183]
	v_add_f64 v[130:131], v[126:127], v[142:143]
	v_add_f64 v[126:127], v[138:139], v[140:141]
	;; [unrolled: 1-line block ×3, first 2 shown]
	v_fma_f64 v[126:127], -0.5, v[126:127], v[70:71]
	v_add_f64 v[182:183], v[134:135], -v[182:183]
	v_fmac_f64_e32 v[156:157], s[16:17], v[184:185]
	v_fmac_f64_e32 v[68:69], s[16:17], v[184:185]
	v_fma_f64 v[134:135], s[18:19], v[182:183], v[126:127]
	v_add_f64 v[144:145], v[144:145], -v[158:159]
	v_add_f64 v[158:159], v[136:137], -v[138:139]
	;; [unrolled: 1-line block ×3, first 2 shown]
	v_fmac_f64_e32 v[126:127], s[14:15], v[182:183]
	v_fmac_f64_e32 v[134:135], s[20:21], v[144:145]
	v_add_f64 v[158:159], v[158:159], v[184:185]
	v_fmac_f64_e32 v[126:127], s[0:1], v[144:145]
	v_fmac_f64_e32 v[134:135], s[16:17], v[158:159]
	v_fmac_f64_e32 v[126:127], s[16:17], v[158:159]
	v_add_f64 v[158:159], v[136:137], v[142:143]
	v_fmac_f64_e32 v[70:71], -0.5, v[158:159]
	v_fma_f64 v[158:159], s[14:15], v[144:145], v[70:71]
	v_add_f64 v[136:137], v[138:139], -v[136:137]
	v_add_f64 v[138:139], v[140:141], -v[142:143]
	v_fmac_f64_e32 v[70:71], s[18:19], v[144:145]
	v_fmac_f64_e32 v[158:159], s[20:21], v[182:183]
	v_add_f64 v[136:137], v[136:137], v[138:139]
	v_fmac_f64_e32 v[70:71], s[0:1], v[182:183]
	v_fmac_f64_e32 v[158:159], s[16:17], v[136:137]
	;; [unrolled: 1-line block ×3, first 2 shown]
	v_add_f64 v[136:137], v[64:65], v[146:147]
	v_add_f64 v[136:137], v[136:137], v[176:177]
	v_add_f64 v[136:137], v[136:137], v[178:179]
	v_fmac_f64_e32 v[52:53], v[172:173], v[16:17]
	v_mul_f64 v[172:173], v[192:193], v[22:23]
	v_add_f64 v[140:141], v[136:137], v[180:181]
	v_add_f64 v[136:137], v[176:177], v[178:179]
	v_fmac_f64_e32 v[172:173], v[194:195], v[20:21]
	v_fma_f64 v[136:137], -0.5, v[136:137], v[64:65]
	v_add_f64 v[138:139], v[52:53], -v[174:175]
	v_fma_f64 v[144:145], s[14:15], v[138:139], v[136:137]
	v_add_f64 v[142:143], v[54:55], -v[172:173]
	v_add_f64 v[182:183], v[146:147], -v[176:177]
	;; [unrolled: 1-line block ×3, first 2 shown]
	v_fmac_f64_e32 v[136:137], s[18:19], v[138:139]
	v_fmac_f64_e32 v[144:145], s[0:1], v[142:143]
	v_add_f64 v[182:183], v[182:183], v[184:185]
	v_fmac_f64_e32 v[136:137], s[20:21], v[142:143]
	v_fmac_f64_e32 v[144:145], s[16:17], v[182:183]
	;; [unrolled: 1-line block ×3, first 2 shown]
	v_add_f64 v[182:183], v[146:147], v[180:181]
	v_fmac_f64_e32 v[64:65], -0.5, v[182:183]
	v_fma_f64 v[182:183], s[18:19], v[142:143], v[64:65]
	v_fmac_f64_e32 v[64:65], s[14:15], v[142:143]
	v_fmac_f64_e32 v[182:183], s[0:1], v[138:139]
	;; [unrolled: 1-line block ×3, first 2 shown]
	v_add_f64 v[138:139], v[66:67], v[52:53]
	v_add_f64 v[138:139], v[138:139], v[54:55]
	;; [unrolled: 1-line block ×3, first 2 shown]
	v_add_f64 v[184:185], v[176:177], -v[146:147]
	v_add_f64 v[186:187], v[178:179], -v[180:181]
	v_add_f64 v[142:143], v[138:139], v[174:175]
	v_add_f64 v[138:139], v[54:55], v[172:173]
	;; [unrolled: 1-line block ×3, first 2 shown]
	v_fma_f64 v[138:139], -0.5, v[138:139], v[66:67]
	v_add_f64 v[180:181], v[146:147], -v[180:181]
	v_fmac_f64_e32 v[182:183], s[16:17], v[184:185]
	v_fmac_f64_e32 v[64:65], s[16:17], v[184:185]
	v_fma_f64 v[146:147], s[18:19], v[180:181], v[138:139]
	v_add_f64 v[176:177], v[176:177], -v[178:179]
	v_add_f64 v[178:179], v[52:53], -v[54:55]
	;; [unrolled: 1-line block ×3, first 2 shown]
	v_fmac_f64_e32 v[138:139], s[14:15], v[180:181]
	v_fmac_f64_e32 v[146:147], s[20:21], v[176:177]
	v_add_f64 v[178:179], v[178:179], v[184:185]
	v_fmac_f64_e32 v[138:139], s[0:1], v[176:177]
	v_fmac_f64_e32 v[146:147], s[16:17], v[178:179]
	;; [unrolled: 1-line block ×3, first 2 shown]
	v_add_f64 v[178:179], v[52:53], v[174:175]
	v_fmac_f64_e32 v[66:67], -0.5, v[178:179]
	v_fma_f64 v[184:185], s[14:15], v[176:177], v[66:67]
	v_add_f64 v[52:53], v[54:55], -v[52:53]
	v_add_f64 v[54:55], v[172:173], -v[174:175]
	v_fmac_f64_e32 v[66:67], s[18:19], v[176:177]
	v_fmac_f64_e32 v[184:185], s[20:21], v[180:181]
	v_add_f64 v[52:53], v[52:53], v[54:55]
	v_fmac_f64_e32 v[66:67], s[0:1], v[180:181]
	v_fmac_f64_e32 v[184:185], s[16:17], v[52:53]
	;; [unrolled: 1-line block ×3, first 2 shown]
	v_add_f64 v[52:53], v[72:73], v[162:163]
	v_add_f64 v[52:53], v[52:53], v[164:165]
	v_mul_f64 v[160:161], v[200:201], v[42:43]
	v_add_f64 v[52:53], v[52:53], v[166:167]
	v_mul_f64 v[152:153], v[188:189], v[46:47]
	v_mul_f64 v[154:155], v[196:197], v[38:39]
	v_fmac_f64_e32 v[160:161], v[202:203], v[40:41]
	v_add_f64 v[172:173], v[52:53], v[170:171]
	v_add_f64 v[52:53], v[164:165], v[166:167]
	v_fmac_f64_e32 v[152:153], v[190:191], v[44:45]
	v_fmac_f64_e32 v[154:155], v[198:199], v[36:37]
	v_fma_f64 v[52:53], -0.5, v[52:53], v[72:73]
	v_add_f64 v[54:55], v[150:151], -v[160:161]
	v_fma_f64 v[176:177], s[14:15], v[54:55], v[52:53]
	v_add_f64 v[174:175], v[152:153], -v[154:155]
	v_add_f64 v[178:179], v[162:163], -v[164:165]
	;; [unrolled: 1-line block ×3, first 2 shown]
	v_fmac_f64_e32 v[52:53], s[18:19], v[54:55]
	v_fmac_f64_e32 v[176:177], s[0:1], v[174:175]
	v_add_f64 v[178:179], v[178:179], v[180:181]
	v_fmac_f64_e32 v[52:53], s[20:21], v[174:175]
	v_fmac_f64_e32 v[176:177], s[16:17], v[178:179]
	v_fmac_f64_e32 v[52:53], s[16:17], v[178:179]
	v_add_f64 v[178:179], v[162:163], v[170:171]
	v_fmac_f64_e32 v[72:73], -0.5, v[178:179]
	v_fma_f64 v[186:187], s[18:19], v[174:175], v[72:73]
	v_fmac_f64_e32 v[72:73], s[14:15], v[174:175]
	v_fmac_f64_e32 v[186:187], s[0:1], v[54:55]
	;; [unrolled: 1-line block ×3, first 2 shown]
	v_add_f64 v[54:55], v[74:75], v[150:151]
	v_add_f64 v[54:55], v[54:55], v[152:153]
	;; [unrolled: 1-line block ×3, first 2 shown]
	v_add_f64 v[178:179], v[164:165], -v[162:163]
	v_add_f64 v[180:181], v[166:167], -v[170:171]
	v_add_f64 v[174:175], v[54:55], v[160:161]
	v_add_f64 v[54:55], v[152:153], v[154:155]
	v_add_f64 v[178:179], v[178:179], v[180:181]
	v_fma_f64 v[54:55], -0.5, v[54:55], v[74:75]
	v_add_f64 v[162:163], v[162:163], -v[170:171]
	v_fmac_f64_e32 v[186:187], s[16:17], v[178:179]
	v_fmac_f64_e32 v[72:73], s[16:17], v[178:179]
	v_fma_f64 v[178:179], s[18:19], v[162:163], v[54:55]
	v_add_f64 v[164:165], v[164:165], -v[166:167]
	v_add_f64 v[166:167], v[150:151], -v[152:153]
	v_add_f64 v[170:171], v[160:161], -v[154:155]
	v_fmac_f64_e32 v[54:55], s[14:15], v[162:163]
	v_fmac_f64_e32 v[178:179], s[20:21], v[164:165]
	v_add_f64 v[166:167], v[166:167], v[170:171]
	v_fmac_f64_e32 v[54:55], s[0:1], v[164:165]
	v_fmac_f64_e32 v[178:179], s[16:17], v[166:167]
	;; [unrolled: 1-line block ×3, first 2 shown]
	v_add_f64 v[166:167], v[150:151], v[160:161]
	v_fmac_f64_e32 v[74:75], -0.5, v[166:167]
	v_mov_b32_e32 v214, v148
	v_fma_f64 v[188:189], s[14:15], v[164:165], v[74:75]
	v_add_f64 v[150:151], v[152:153], -v[150:151]
	v_add_f64 v[152:153], v[154:155], -v[160:161]
	v_fmac_f64_e32 v[74:75], s[18:19], v[164:165]
	v_fmac_f64_e32 v[188:189], s[20:21], v[162:163]
	v_add_f64 v[150:151], v[150:151], v[152:153]
	v_fmac_f64_e32 v[74:75], s[0:1], v[162:163]
	v_lshlrev_b32_e32 v148, 4, v214
	v_fmac_f64_e32 v[188:189], s[16:17], v[150:151]
	v_fmac_f64_e32 v[74:75], s[16:17], v[150:151]
	ds_write_b128 v168, v[80:83]
	ds_write_b128 v168, v[84:87] offset:4480
	ds_write_b128 v168, v[88:91] offset:8960
	;; [unrolled: 1-line block ×24, first 2 shown]
	s_waitcnt lgkmcnt(0)
	; wave barrier
	s_waitcnt lgkmcnt(0)
	global_load_dwordx4 v[56:59], v148, s[12:13]
	v_lshl_add_u64 v[124:125], s[12:13], 0, v[148:149]
	s_movk_i32 s0, 0x2000
	v_add_co_u32_e32 v126, vcc, s0, v124
	s_movk_i32 s0, 0x3000
	s_nop 0
	v_addc_co_u32_e32 v127, vcc, 0, v125, vcc
	global_load_dwordx4 v[60:63], v[126:127], off offset:3008
	global_load_dwordx4 v[64:67], v148, s[12:13] offset:896
	global_load_dwordx4 v[68:71], v[126:127], off offset:3904
	global_load_dwordx4 v[72:75], v148, s[12:13] offset:1792
	v_add_co_u32_e32 v128, vcc, s0, v124
	s_movk_i32 s0, 0x5000
	s_nop 0
	v_addc_co_u32_e32 v129, vcc, 0, v125, vcc
	global_load_dwordx4 v[76:79], v[128:129], off offset:704
	global_load_dwordx4 v[80:83], v148, s[12:13] offset:2688
	global_load_dwordx4 v[84:87], v[128:129], off offset:1600
	global_load_dwordx4 v[88:91], v148, s[12:13] offset:3584
	ds_read_b128 v[120:123], v168
	ds_read_b128 v[228:231], v168 offset:896
	global_load_dwordx4 v[92:95], v[128:129], off offset:2496
	global_load_dwordx4 v[142:145], v[128:129], off offset:3392
	v_add_co_u32_e32 v130, vcc, s22, v124
	s_waitcnt vmcnt(10) lgkmcnt(1)
	v_mul_f64 v[138:139], v[122:123], v[58:59]
	v_addc_co_u32_e32 v131, vcc, 0, v125, vcc
	global_load_dwordx4 v[236:239], v[130:131], off offset:384
	v_mul_f64 v[140:141], v[120:121], v[58:59]
	v_add_co_u32_e32 v132, vcc, s0, v124
	v_fma_f64 v[138:139], v[120:121], v[56:57], -v[138:139]
	v_fmac_f64_e32 v[140:141], v[122:123], v[56:57]
	ds_read_b128 v[56:59], v168 offset:11200
	ds_read_b128 v[120:123], v168 offset:12096
	v_addc_co_u32_e32 v133, vcc, 0, v125, vcc
	ds_write_b128 v168, v[138:141]
	s_movk_i32 s0, 0x4000
	global_load_dwordx4 v[134:137], v[132:133], off offset:576
	global_load_dwordx4 v[138:141], v[130:131], off offset:1280
	global_load_dwordx4 v[146:149], v[126:127], off offset:1664
	v_add_co_u32_e32 v166, vcc, s0, v124
	s_waitcnt vmcnt(13) lgkmcnt(2)
	v_mul_f64 v[128:129], v[58:59], v[62:63]
	v_addc_co_u32_e32 v167, vcc, 0, v125, vcc
	global_load_dwordx4 v[150:153], v[166:167], off offset:192
	v_mul_f64 v[156:157], v[56:57], v[62:63]
	v_fma_f64 v[154:155], v[56:57], v[60:61], -v[128:129]
	v_fmac_f64_e32 v[156:157], v[58:59], v[60:61]
	global_load_dwordx4 v[56:59], v[130:131], off offset:2176
	s_waitcnt vmcnt(14)
	v_mul_f64 v[60:61], v[230:231], v[66:67]
	v_mul_f64 v[62:63], v[228:229], v[66:67]
	v_fma_f64 v[60:61], v[228:229], v[64:65], -v[60:61]
	v_fmac_f64_e32 v[62:63], v[230:231], v[64:65]
	global_load_dwordx4 v[64:67], v[166:167], off offset:1088
	global_load_dwordx4 v[162:165], v[166:167], off offset:1984
	ds_write_b128 v168, v[154:157] offset:11200
	ds_read_b128 v[154:157], v168 offset:1792
	ds_write_b128 v168, v[60:63] offset:896
	s_waitcnt vmcnt(15) lgkmcnt(4)
	v_mul_f64 v[60:61], v[122:123], v[70:71]
	v_mul_f64 v[62:63], v[120:121], v[70:71]
	v_fma_f64 v[60:61], v[120:121], v[68:69], -v[60:61]
	v_fmac_f64_e32 v[62:63], v[122:123], v[68:69]
	v_accvgpr_read_b32 v68, a102
	global_load_dwordx4 v[68:71], v68, s[12:13]
	ds_write_b128 v168, v[60:63] offset:12096
	ds_read_b128 v[60:63], v168 offset:2688
	s_waitcnt vmcnt(15) lgkmcnt(3)
	v_mul_f64 v[120:121], v[156:157], v[74:75]
	v_mul_f64 v[122:123], v[154:155], v[74:75]
	v_fma_f64 v[120:121], v[154:155], v[72:73], -v[120:121]
	ds_read_b128 v[158:161], v168 offset:12992
	v_fmac_f64_e32 v[122:123], v[156:157], v[72:73]
	ds_read_b128 v[72:75], v168 offset:13888
	ds_write_b128 v168, v[120:123] offset:1792
	global_load_dwordx4 v[120:123], v[130:131], off offset:3968
	s_waitcnt vmcnt(15) lgkmcnt(2)
	v_mul_f64 v[128:129], v[160:161], v[78:79]
	v_mul_f64 v[130:131], v[158:159], v[78:79]
	v_fma_f64 v[128:129], v[158:159], v[76:77], -v[128:129]
	v_fmac_f64_e32 v[130:131], v[160:161], v[76:77]
	global_load_dwordx4 v[76:79], v[166:167], off offset:2880
	ds_write_b128 v168, v[128:131] offset:12992
	s_waitcnt vmcnt(15)
	v_mul_f64 v[128:129], v[62:63], v[82:83]
	v_mul_f64 v[130:131], v[60:61], v[82:83]
	v_fma_f64 v[128:129], v[60:61], v[80:81], -v[128:129]
	v_fmac_f64_e32 v[130:131], v[62:63], v[80:81]
	global_load_dwordx4 v[60:63], v[126:127], off offset:768
	s_waitcnt vmcnt(15) lgkmcnt(2)
	v_mul_f64 v[80:81], v[74:75], v[86:87]
	v_mul_f64 v[82:83], v[72:73], v[86:87]
	v_fma_f64 v[80:81], v[72:73], v[84:85], -v[80:81]
	v_fmac_f64_e32 v[82:83], v[74:75], v[84:85]
	ds_write_b128 v168, v[80:83] offset:13888
	global_load_dwordx4 v[80:83], v[166:167], off offset:3776
	ds_write_b128 v168, v[128:131] offset:2688
	ds_read_b128 v[126:129], v168 offset:3584
	ds_read_b128 v[72:75], v168 offset:4480
	;; [unrolled: 1-line block ×3, first 2 shown]
	s_waitcnt vmcnt(15) lgkmcnt(2)
	v_mul_f64 v[84:85], v[128:129], v[90:91]
	v_mul_f64 v[86:87], v[126:127], v[90:91]
	v_fma_f64 v[84:85], v[126:127], v[88:89], -v[84:85]
	v_fmac_f64_e32 v[86:87], v[128:129], v[88:89]
	ds_write_b128 v168, v[84:87] offset:3584
	ds_read_b128 v[84:87], v168 offset:15680
	s_waitcnt vmcnt(14) lgkmcnt(2)
	v_mul_f64 v[88:89], v[156:157], v[94:95]
	v_mul_f64 v[90:91], v[154:155], v[94:95]
	v_fma_f64 v[88:89], v[154:155], v[92:93], -v[88:89]
	v_fmac_f64_e32 v[90:91], v[156:157], v[92:93]
	ds_write_b128 v168, v[88:91] offset:14784
	s_waitcnt vmcnt(12)
	v_mul_f64 v[88:89], v[74:75], v[238:239]
	v_mul_f64 v[90:91], v[72:73], v[238:239]
	v_fma_f64 v[88:89], v[72:73], v[236:237], -v[88:89]
	v_fmac_f64_e32 v[90:91], v[74:75], v[236:237]
	ds_write_b128 v168, v[88:91] offset:4480
	ds_read_b128 v[88:91], v168 offset:5376
	s_waitcnt lgkmcnt(3)
	v_mul_f64 v[72:73], v[86:87], v[144:145]
	v_mul_f64 v[74:75], v[84:85], v[144:145]
	ds_read_b128 v[92:95], v168 offset:16576
	v_fma_f64 v[72:73], v[84:85], v[142:143], -v[72:73]
	v_fmac_f64_e32 v[74:75], v[86:87], v[142:143]
	ds_write_b128 v168, v[72:75] offset:15680
	ds_read_b128 v[72:75], v168 offset:6272
	s_waitcnt vmcnt(10) lgkmcnt(3)
	v_mul_f64 v[84:85], v[90:91], v[140:141]
	v_mul_f64 v[86:87], v[88:89], v[140:141]
	v_fma_f64 v[84:85], v[88:89], v[138:139], -v[84:85]
	v_fmac_f64_e32 v[86:87], v[90:91], v[138:139]
	ds_write_b128 v168, v[84:87] offset:5376
	ds_read_b128 v[84:87], v168 offset:17472
	s_waitcnt vmcnt(8) lgkmcnt(4)
	v_mul_f64 v[88:89], v[94:95], v[152:153]
	v_mul_f64 v[90:91], v[92:93], v[152:153]
	v_fma_f64 v[88:89], v[92:93], v[150:151], -v[88:89]
	v_fmac_f64_e32 v[90:91], v[94:95], v[150:151]
	ds_write_b128 v168, v[88:91] offset:16576
	s_waitcnt vmcnt(7) lgkmcnt(3)
	v_mul_f64 v[88:89], v[74:75], v[58:59]
	v_mul_f64 v[90:91], v[72:73], v[58:59]
	v_fma_f64 v[88:89], v[72:73], v[56:57], -v[88:89]
	v_fmac_f64_e32 v[90:91], v[74:75], v[56:57]
	ds_read_b128 v[72:75], v168 offset:7168
	s_waitcnt vmcnt(6) lgkmcnt(2)
	v_mul_f64 v[56:57], v[86:87], v[66:67]
	v_mul_f64 v[58:59], v[84:85], v[66:67]
	v_fma_f64 v[56:57], v[84:85], v[64:65], -v[56:57]
	v_fmac_f64_e32 v[58:59], v[86:87], v[64:65]
	ds_read_b128 v[84:87], v168 offset:18368
	ds_write_b128 v168, v[56:59] offset:17472
	ds_read_b128 v[56:59], v168 offset:8064
	s_waitcnt vmcnt(4) lgkmcnt(3)
	v_mul_f64 v[64:65], v[74:75], v[70:71]
	v_mul_f64 v[66:67], v[72:73], v[70:71]
	v_fma_f64 v[64:65], v[72:73], v[68:69], -v[64:65]
	v_fmac_f64_e32 v[66:67], v[74:75], v[68:69]
	ds_write_b128 v168, v[64:67] offset:7168
	ds_read_b128 v[64:67], v168 offset:19264
	s_waitcnt lgkmcnt(4)
	v_mul_f64 v[68:69], v[86:87], v[164:165]
	v_mul_f64 v[70:71], v[84:85], v[164:165]
	v_fma_f64 v[68:69], v[84:85], v[162:163], -v[68:69]
	v_fmac_f64_e32 v[70:71], v[86:87], v[162:163]
	ds_write_b128 v168, v[68:71] offset:18368
	s_waitcnt vmcnt(3) lgkmcnt(3)
	v_mul_f64 v[68:69], v[58:59], v[122:123]
	v_mul_f64 v[70:71], v[56:57], v[122:123]
	v_fma_f64 v[68:69], v[56:57], v[120:121], -v[68:69]
	v_fmac_f64_e32 v[70:71], v[58:59], v[120:121]
	ds_write_b128 v168, v[68:71] offset:8064
	ds_read_b128 v[68:71], v168 offset:8960
	s_waitcnt vmcnt(2) lgkmcnt(3)
	v_mul_f64 v[56:57], v[66:67], v[78:79]
	v_mul_f64 v[58:59], v[64:65], v[78:79]
	ds_read_b128 v[72:75], v168 offset:20160
	v_fma_f64 v[56:57], v[64:65], v[76:77], -v[56:57]
	v_fmac_f64_e32 v[58:59], v[66:67], v[76:77]
	ds_write_b128 v168, v[56:59] offset:19264
	ds_read_b128 v[56:59], v168 offset:9856
	s_waitcnt vmcnt(1) lgkmcnt(3)
	v_mul_f64 v[64:65], v[70:71], v[62:63]
	v_mul_f64 v[66:67], v[68:69], v[62:63]
	v_fma_f64 v[64:65], v[68:69], v[60:61], -v[64:65]
	v_fmac_f64_e32 v[66:67], v[70:71], v[60:61]
	ds_read_b128 v[60:63], v168 offset:21056
	ds_write_b128 v168, v[64:67] offset:8960
	s_waitcnt vmcnt(0) lgkmcnt(4)
	v_mul_f64 v[64:65], v[74:75], v[82:83]
	v_mul_f64 v[66:67], v[72:73], v[82:83]
	v_fma_f64 v[64:65], v[72:73], v[80:81], -v[64:65]
	v_fmac_f64_e32 v[66:67], v[74:75], v[80:81]
	ds_write_b128 v168, v[64:67] offset:20160
	s_waitcnt lgkmcnt(3)
	v_mul_f64 v[64:65], v[58:59], v[148:149]
	v_mul_f64 v[66:67], v[56:57], v[148:149]
	v_fma_f64 v[64:65], v[56:57], v[146:147], -v[64:65]
	v_fmac_f64_e32 v[66:67], v[58:59], v[146:147]
	s_waitcnt lgkmcnt(2)
	v_mul_f64 v[56:57], v[62:63], v[136:137]
	v_mul_f64 v[58:59], v[60:61], v[136:137]
	v_fma_f64 v[56:57], v[60:61], v[134:135], -v[56:57]
	v_fmac_f64_e32 v[58:59], v[62:63], v[134:135]
	ds_write_b128 v168, v[88:91] offset:6272
	ds_write_b128 v168, v[64:67] offset:9856
	ds_write_b128 v168, v[56:59] offset:21056
	s_and_saveexec_b64 s[0:1], s[4:5]
	s_cbranch_execz .LBB0_21
; %bb.20:
	v_add_co_u32_e32 v60, vcc, 0x2000, v124
	ds_read_b128 v[56:59], v168 offset:10752
	s_nop 0
	v_addc_co_u32_e32 v61, vcc, 0, v125, vcc
	global_load_dwordx4 v[60:63], v[60:61], off offset:2560
	s_waitcnt vmcnt(0) lgkmcnt(0)
	v_mul_f64 v[64:65], v[58:59], v[62:63]
	v_mul_f64 v[66:67], v[56:57], v[62:63]
	v_fma_f64 v[64:65], v[56:57], v[60:61], -v[64:65]
	v_fmac_f64_e32 v[66:67], v[58:59], v[60:61]
	global_load_dwordx4 v[60:63], v[132:133], off offset:1472
	ds_read_b128 v[56:59], v168 offset:21952
	ds_write_b128 v168, v[64:67] offset:10752
	s_waitcnt vmcnt(0) lgkmcnt(1)
	v_mul_f64 v[64:65], v[58:59], v[62:63]
	v_mul_f64 v[66:67], v[56:57], v[62:63]
	v_fma_f64 v[64:65], v[56:57], v[60:61], -v[64:65]
	v_fmac_f64_e32 v[66:67], v[58:59], v[60:61]
	ds_write_b128 v168, v[64:67] offset:21952
.LBB0_21:
	s_or_b64 exec, exec, s[0:1]
	s_waitcnt lgkmcnt(0)
	; wave barrier
	s_waitcnt lgkmcnt(0)
	ds_read_b128 v[152:155], v168
	ds_read_b128 v[140:143], v168 offset:896
	ds_read_b128 v[164:167], v168 offset:11200
	;; [unrolled: 1-line block ×23, first 2 shown]
	s_and_saveexec_b64 s[0:1], s[4:5]
	s_cbranch_execz .LBB0_23
; %bb.22:
	ds_read_b128 v[52:55], v168 offset:10752
	ds_read_b128 v[48:51], v168 offset:21952
.LBB0_23:
	s_or_b64 exec, exec, s[0:1]
	s_waitcnt lgkmcnt(0)
	v_add_f64 v[60:61], v[56:57], -v[60:61]
	v_add_f64 v[164:165], v[152:153], -v[164:165]
	;; [unrolled: 1-line block ×3, first 2 shown]
	v_fma_f64 v[178:179], v[56:57], 2.0, -v[60:61]
	v_add_f64 v[56:57], v[52:53], -v[48:49]
	v_fma_f64 v[152:153], v[152:153], 2.0, -v[164:165]
	v_fma_f64 v[154:155], v[154:155], 2.0, -v[166:167]
	v_add_f64 v[148:149], v[140:141], -v[148:149]
	v_add_f64 v[150:151], v[142:143], -v[150:151]
	v_fma_f64 v[48:49], v[52:53], 2.0, -v[56:57]
	v_accvgpr_read_b32 v52, a104
	v_fma_f64 v[140:141], v[140:141], 2.0, -v[148:149]
	v_fma_f64 v[142:143], v[142:143], 2.0, -v[150:151]
	v_add_f64 v[144:145], v[136:137], -v[144:145]
	v_add_f64 v[146:147], v[138:139], -v[146:147]
	s_waitcnt lgkmcnt(0)
	; wave barrier
	ds_write_b128 v52, v[152:155]
	ds_write_b128 v52, v[164:167] offset:16
	v_accvgpr_read_b32 v52, a105
	v_fma_f64 v[136:137], v[136:137], 2.0, -v[144:145]
	v_fma_f64 v[138:139], v[138:139], 2.0, -v[146:147]
	v_add_f64 v[170:171], v[160:161], -v[236:237]
	v_add_f64 v[172:173], v[162:163], -v[238:239]
	ds_write_b128 v52, v[140:143]
	ds_write_b128 v52, v[148:151] offset:16
	v_accvgpr_read_b32 v52, a106
	v_fma_f64 v[160:161], v[160:161], 2.0, -v[170:171]
	v_fma_f64 v[162:163], v[162:163], 2.0, -v[172:173]
	v_add_f64 v[174:175], v[156:157], -v[228:229]
	v_add_f64 v[176:177], v[158:159], -v[230:231]
	;; [unrolled: 7-line block ×8, first 2 shown]
	v_add_f64 v[62:63], v[58:59], -v[62:63]
	ds_write_b128 v52, v[80:83]
	ds_write_b128 v52, v[88:91] offset:16
	v_accvgpr_read_b32 v52, a114
	v_fma_f64 v[64:65], v[64:65], 2.0, -v[72:73]
	v_fma_f64 v[66:67], v[66:67], 2.0, -v[74:75]
	;; [unrolled: 1-line block ×3, first 2 shown]
	v_add_f64 v[58:59], v[54:55], -v[50:51]
	ds_write_b128 v52, v[68:71]
	ds_write_b128 v52, v[76:79] offset:16
	v_accvgpr_read_b32 v52, a115
	v_fma_f64 v[50:51], v[54:55], 2.0, -v[58:59]
	ds_write_b128 v52, v[64:67]
	ds_write_b128 v52, v[72:75] offset:16
	v_accvgpr_read_b32 v52, a116
	ds_write_b128 v52, v[178:181]
	ds_write_b128 v52, v[60:63] offset:16
	s_and_saveexec_b64 s[0:1], s[4:5]
	s_cbranch_execz .LBB0_25
; %bb.24:
	v_accvgpr_read_b32 v52, a110
	ds_write_b128 v52, v[48:51]
	ds_write_b128 v52, v[56:59] offset:16
.LBB0_25:
	s_or_b64 exec, exec, s[0:1]
	s_waitcnt lgkmcnt(0)
	; wave barrier
	s_waitcnt lgkmcnt(0)
	ds_read_b128 v[124:127], v168
	ds_read_b128 v[120:123], v168 offset:896
	ds_read_b128 v[164:167], v168 offset:11200
	;; [unrolled: 1-line block ×23, first 2 shown]
	s_and_saveexec_b64 s[0:1], s[4:5]
	s_cbranch_execz .LBB0_27
; %bb.26:
	ds_read_b128 v[48:51], v168 offset:10752
	ds_read_b128 v[56:59], v168 offset:21952
.LBB0_27:
	s_or_b64 exec, exec, s[0:1]
	s_waitcnt lgkmcnt(13)
	v_mul_f64 v[178:179], v[98:99], v[150:151]
	s_waitcnt lgkmcnt(9)
	v_mul_f64 v[180:181], v[98:99], v[142:143]
	v_mul_f64 v[170:171], v[98:99], v[166:167]
	;; [unrolled: 1-line block ×3, first 2 shown]
	v_fmac_f64_e32 v[178:179], v[96:97], v[148:149]
	v_mul_f64 v[148:149], v[98:99], v[148:149]
	v_fmac_f64_e32 v[180:181], v[96:97], v[140:141]
	v_mul_f64 v[140:141], v[98:99], v[140:141]
	;; [unrolled: 2-line block ×4, first 2 shown]
	v_fma_f64 v[148:149], v[96:97], v[150:151], -v[148:149]
	v_mul_f64 v[150:151], v[98:99], v[146:147]
	v_fma_f64 v[182:183], v[96:97], v[142:143], -v[140:141]
	s_waitcnt lgkmcnt(8)
	v_mul_f64 v[184:185], v[98:99], v[162:163]
	v_mul_f64 v[140:141], v[98:99], v[160:161]
	s_waitcnt lgkmcnt(4)
	v_mul_f64 v[186:187], v[98:99], v[138:139]
	s_waitcnt lgkmcnt(1)
	;; [unrolled: 2-line block ×3, first 2 shown]
	v_mul_f64 v[194:195], v[98:99], v[130:131]
	v_mul_f64 v[198:199], v[98:99], v[58:59]
	v_fma_f64 v[164:165], v[96:97], v[166:167], -v[164:165]
	v_mul_f64 v[166:167], v[98:99], v[238:239]
	v_mul_f64 v[172:173], v[98:99], v[236:237]
	v_fma_f64 v[152:153], v[96:97], v[154:155], -v[152:153]
	v_mul_f64 v[154:155], v[98:99], v[230:231]
	v_mul_f64 v[176:177], v[98:99], v[228:229]
	v_fmac_f64_e32 v[150:151], v[96:97], v[144:145]
	v_mul_f64 v[144:145], v[98:99], v[144:145]
	v_fmac_f64_e32 v[184:185], v[96:97], v[160:161]
	v_fma_f64 v[160:161], v[96:97], v[162:163], -v[140:141]
	v_mul_f64 v[162:163], v[98:99], v[158:159]
	v_mul_f64 v[140:141], v[98:99], v[156:157]
	v_fmac_f64_e32 v[186:187], v[96:97], v[136:137]
	v_mul_f64 v[136:137], v[98:99], v[136:137]
	v_fmac_f64_e32 v[190:191], v[96:97], v[132:133]
	;; [unrolled: 2-line block ×5, first 2 shown]
	v_fma_f64 v[172:173], v[96:97], v[238:239], -v[172:173]
	v_fmac_f64_e32 v[154:155], v[96:97], v[228:229]
	v_fma_f64 v[176:177], v[96:97], v[230:231], -v[176:177]
	v_fma_f64 v[146:147], v[96:97], v[146:147], -v[144:145]
	v_fmac_f64_e32 v[162:163], v[96:97], v[156:157]
	v_fma_f64 v[158:159], v[96:97], v[158:159], -v[140:141]
	v_fma_f64 v[188:189], v[96:97], v[138:139], -v[136:137]
	;; [unrolled: 1-line block ×5, first 2 shown]
	v_add_f64 v[96:97], v[124:125], -v[170:171]
	v_add_f64 v[98:99], v[126:127], -v[164:165]
	;; [unrolled: 1-line block ×4, first 2 shown]
	v_fma_f64 v[124:125], v[124:125], 2.0, -v[96:97]
	v_fma_f64 v[126:127], v[126:127], 2.0, -v[98:99]
	v_add_f64 v[128:129], v[120:121], -v[166:167]
	v_add_f64 v[130:131], v[122:123], -v[172:173]
	;; [unrolled: 1-line block ×3, first 2 shown]
	v_fma_f64 v[174:175], v[52:53], 2.0, -v[170:171]
	v_fma_f64 v[52:53], v[48:49], 2.0, -v[56:57]
	v_accvgpr_read_b32 v48, a117
	v_fma_f64 v[120:121], v[120:121], 2.0, -v[128:129]
	v_fma_f64 v[122:123], v[122:123], 2.0, -v[130:131]
	v_add_f64 v[134:135], v[94:95], -v[152:153]
	s_waitcnt lgkmcnt(0)
	; wave barrier
	ds_write_b128 v48, v[124:127]
	ds_write_b128 v48, v[96:99] offset:32
	v_accvgpr_read_b32 v48, a118
	v_fma_f64 v[92:93], v[92:93], 2.0, -v[132:133]
	v_fma_f64 v[94:95], v[94:95], 2.0, -v[134:135]
	v_add_f64 v[136:137], v[88:89], -v[154:155]
	v_add_f64 v[138:139], v[90:91], -v[176:177]
	ds_write_b128 v48, v[120:123]
	ds_write_b128 v48, v[128:131] offset:32
	v_accvgpr_read_b32 v48, a119
	v_fma_f64 v[88:89], v[88:89], 2.0, -v[136:137]
	v_fma_f64 v[90:91], v[90:91], 2.0, -v[138:139]
	v_add_f64 v[140:141], v[84:85], -v[178:179]
	v_add_f64 v[142:143], v[86:87], -v[148:149]
	ds_write_b128 v48, v[92:95]
	ds_write_b128 v48, v[132:135] offset:32
	v_accvgpr_read_b32 v48, a120
	v_fma_f64 v[84:85], v[84:85], 2.0, -v[140:141]
	v_fma_f64 v[86:87], v[86:87], 2.0, -v[142:143]
	v_add_f64 v[144:145], v[80:81], -v[150:151]
	v_add_f64 v[146:147], v[82:83], -v[146:147]
	ds_write_b128 v48, v[88:91]
	ds_write_b128 v48, v[136:139] offset:32
	v_accvgpr_read_b32 v48, a121
	v_fma_f64 v[80:81], v[80:81], 2.0, -v[144:145]
	v_fma_f64 v[82:83], v[82:83], 2.0, -v[146:147]
	v_add_f64 v[148:149], v[76:77], -v[180:181]
	v_add_f64 v[150:151], v[78:79], -v[182:183]
	ds_write_b128 v48, v[84:87]
	ds_write_b128 v48, v[140:143] offset:32
	v_accvgpr_read_b32 v48, a122
	v_fma_f64 v[76:77], v[76:77], 2.0, -v[148:149]
	v_fma_f64 v[78:79], v[78:79], 2.0, -v[150:151]
	v_add_f64 v[152:153], v[72:73], -v[184:185]
	v_add_f64 v[154:155], v[74:75], -v[160:161]
	ds_write_b128 v48, v[80:83]
	ds_write_b128 v48, v[144:147] offset:32
	v_accvgpr_read_b32 v48, a123
	v_fma_f64 v[72:73], v[72:73], 2.0, -v[152:153]
	v_fma_f64 v[74:75], v[74:75], 2.0, -v[154:155]
	v_add_f64 v[156:157], v[68:69], -v[162:163]
	v_add_f64 v[158:159], v[70:71], -v[158:159]
	ds_write_b128 v48, v[76:79]
	ds_write_b128 v48, v[148:151] offset:32
	v_accvgpr_read_b32 v48, a124
	v_fma_f64 v[68:69], v[68:69], 2.0, -v[156:157]
	v_fma_f64 v[70:71], v[70:71], 2.0, -v[158:159]
	v_add_f64 v[160:161], v[64:65], -v[186:187]
	v_add_f64 v[162:163], v[66:67], -v[188:189]
	ds_write_b128 v48, v[72:75]
	ds_write_b128 v48, v[152:155] offset:32
	v_accvgpr_read_b32 v48, a125
	v_fma_f64 v[64:65], v[64:65], 2.0, -v[160:161]
	v_fma_f64 v[66:67], v[66:67], 2.0, -v[162:163]
	v_add_f64 v[164:165], v[60:61], -v[190:191]
	v_add_f64 v[166:167], v[62:63], -v[192:193]
	ds_write_b128 v48, v[68:71]
	ds_write_b128 v48, v[156:159] offset:32
	v_accvgpr_read_b32 v48, a126
	v_fma_f64 v[60:61], v[60:61], 2.0, -v[164:165]
	v_fma_f64 v[62:63], v[62:63], 2.0, -v[166:167]
	v_add_f64 v[172:173], v[54:55], -v[196:197]
	v_add_f64 v[58:59], v[50:51], -v[58:59]
	ds_write_b128 v48, v[64:67]
	ds_write_b128 v48, v[160:163] offset:32
	v_accvgpr_read_b32 v48, a127
	v_fma_f64 v[176:177], v[54:55], 2.0, -v[172:173]
	v_fma_f64 v[54:55], v[50:51], 2.0, -v[58:59]
	ds_write_b128 v48, v[60:63]
	ds_write_b128 v48, v[164:167] offset:32
	v_accvgpr_read_b32 v48, a128
	ds_write_b128 v48, v[174:177]
	ds_write_b128 v48, v[170:173] offset:32
	s_and_saveexec_b64 s[0:1], s[4:5]
	s_cbranch_execz .LBB0_29
; %bb.28:
	s_movk_i32 s12, 0x57c
	v_accvgpr_read_b32 v48, a19
	v_accvgpr_read_b32 v49, a21
	v_and_or_b32 v48, v48, s12, v49
	v_lshlrev_b32_e32 v48, 4, v48
	ds_write_b128 v48, v[52:55]
	ds_write_b128 v48, v[56:59] offset:32
.LBB0_29:
	s_or_b64 exec, exec, s[0:1]
	s_waitcnt lgkmcnt(0)
	; wave barrier
	s_waitcnt lgkmcnt(0)
	ds_read_b128 v[120:123], v168
	ds_read_b128 v[96:99], v168 offset:896
	ds_read_b128 v[164:167], v168 offset:11200
	;; [unrolled: 1-line block ×23, first 2 shown]
	s_and_saveexec_b64 s[0:1], s[4:5]
	s_cbranch_execz .LBB0_31
; %bb.30:
	ds_read_b128 v[52:55], v168 offset:10752
	ds_read_b128 v[56:59], v168 offset:21952
.LBB0_31:
	s_or_b64 exec, exec, s[0:1]
	s_waitcnt lgkmcnt(14)
	v_mul_f64 v[174:175], v[102:103], v[154:155]
	v_fmac_f64_e32 v[174:175], v[100:101], v[152:153]
	v_mul_f64 v[152:153], v[102:103], v[152:153]
	v_fma_f64 v[152:153], v[100:101], v[154:155], -v[152:153]
	v_mul_f64 v[154:155], v[102:103], v[162:163]
	v_fmac_f64_e32 v[154:155], v[100:101], v[160:161]
	v_mul_f64 v[160:161], v[102:103], v[160:161]
	v_fma_f64 v[160:161], v[100:101], v[162:163], -v[160:161]
	s_waitcnt lgkmcnt(13)
	v_mul_f64 v[162:163], v[102:103], v[150:151]
	v_fmac_f64_e32 v[162:163], v[100:101], v[148:149]
	v_mul_f64 v[148:149], v[102:103], v[148:149]
	v_fma_f64 v[148:149], v[100:101], v[150:151], -v[148:149]
	s_waitcnt lgkmcnt(12)
	;; [unrolled: 5-line block ×3, first 2 shown]
	v_mul_f64 v[146:147], v[102:103], v[142:143]
	v_mul_f64 v[170:171], v[102:103], v[166:167]
	v_fmac_f64_e32 v[146:147], v[100:101], v[140:141]
	v_mul_f64 v[140:141], v[102:103], v[140:141]
	v_fmac_f64_e32 v[170:171], v[100:101], v[164:165]
	v_mul_f64 v[164:165], v[102:103], v[164:165]
	v_fma_f64 v[142:143], v[100:101], v[142:143], -v[140:141]
	s_waitcnt lgkmcnt(8)
	v_mul_f64 v[176:177], v[102:103], v[158:159]
	v_mul_f64 v[140:141], v[102:103], v[156:157]
	s_waitcnt lgkmcnt(0)
	v_mul_f64 v[192:193], v[102:103], v[58:59]
	v_fma_f64 v[164:165], v[100:101], v[166:167], -v[164:165]
	v_mul_f64 v[166:167], v[102:103], v[230:231]
	v_mul_f64 v[172:173], v[102:103], v[228:229]
	v_fmac_f64_e32 v[176:177], v[100:101], v[156:157]
	v_fma_f64 v[156:157], v[100:101], v[158:159], -v[140:141]
	v_mul_f64 v[158:159], v[102:103], v[138:139]
	v_mul_f64 v[180:181], v[102:103], v[134:135]
	;; [unrolled: 1-line block ×4, first 2 shown]
	v_fmac_f64_e32 v[192:193], v[100:101], v[56:57]
	v_mul_f64 v[56:57], v[102:103], v[56:57]
	v_fmac_f64_e32 v[166:167], v[100:101], v[228:229]
	v_fma_f64 v[172:173], v[100:101], v[230:231], -v[172:173]
	v_fmac_f64_e32 v[158:159], v[100:101], v[136:137]
	v_mul_f64 v[136:137], v[102:103], v[136:137]
	v_fmac_f64_e32 v[180:181], v[100:101], v[132:133]
	v_mul_f64 v[132:133], v[102:103], v[132:133]
	;; [unrolled: 2-line block ×4, first 2 shown]
	v_fma_f64 v[194:195], v[100:101], v[58:59], -v[56:57]
	v_add_f64 v[56:57], v[120:121], -v[170:171]
	v_add_f64 v[58:59], v[122:123], -v[164:165]
	v_fma_f64 v[178:179], v[100:101], v[138:139], -v[136:137]
	v_fma_f64 v[182:183], v[100:101], v[134:135], -v[132:133]
	;; [unrolled: 1-line block ×4, first 2 shown]
	v_fma_f64 v[100:101], v[120:121], 2.0, -v[56:57]
	v_fma_f64 v[102:103], v[122:123], 2.0, -v[58:59]
	v_add_f64 v[120:121], v[96:97], -v[166:167]
	v_add_f64 v[122:123], v[98:99], -v[172:173]
	v_accvgpr_read_b32 v170, a129
	v_fma_f64 v[96:97], v[96:97], 2.0, -v[120:121]
	v_fma_f64 v[98:99], v[98:99], 2.0, -v[122:123]
	v_add_f64 v[124:125], v[92:93], -v[174:175]
	v_add_f64 v[126:127], v[94:95], -v[152:153]
	s_waitcnt lgkmcnt(0)
	; wave barrier
	ds_write_b128 v170, v[100:103]
	ds_write_b128 v170, v[56:59] offset:64
	v_accvgpr_read_b32 v56, a130
	v_fma_f64 v[92:93], v[92:93], 2.0, -v[124:125]
	v_fma_f64 v[94:95], v[94:95], 2.0, -v[126:127]
	v_add_f64 v[128:129], v[88:89], -v[154:155]
	v_add_f64 v[130:131], v[90:91], -v[160:161]
	ds_write_b128 v56, v[96:99]
	ds_write_b128 v56, v[120:123] offset:64
	v_accvgpr_read_b32 v56, a131
	v_fma_f64 v[88:89], v[88:89], 2.0, -v[128:129]
	v_fma_f64 v[90:91], v[90:91], 2.0, -v[130:131]
	v_add_f64 v[132:133], v[84:85], -v[162:163]
	v_add_f64 v[134:135], v[86:87], -v[148:149]
	;; [unrolled: 7-line block ×10, first 2 shown]
	ds_write_b128 v56, v[60:63]
	ds_write_b128 v56, v[156:159] offset:64
	v_accvgpr_read_b32 v56, a140
	ds_write_b128 v56, v[164:167]
	ds_write_b128 v56, v[160:163] offset:64
	s_and_saveexec_b64 s[0:1], s[4:5]
	s_cbranch_execz .LBB0_33
; %bb.32:
	s_movk_i32 s12, 0x578
	v_accvgpr_read_b32 v56, a19
	v_accvgpr_read_b32 v57, a103
	v_and_or_b32 v56, v56, s12, v57
	v_fma_f64 v[54:55], v[54:55], 2.0, -v[50:51]
	v_fma_f64 v[52:53], v[52:53], 2.0, -v[48:49]
	v_lshlrev_b32_e32 v56, 4, v56
	ds_write_b128 v56, v[52:55]
	ds_write_b128 v56, v[48:51] offset:64
.LBB0_33:
	s_or_b64 exec, exec, s[0:1]
	s_waitcnt lgkmcnt(0)
	; wave barrier
	s_waitcnt lgkmcnt(0)
	ds_read_b128 v[56:59], v168
	ds_read_b128 v[60:63], v168 offset:896
	ds_read_b128 v[52:55], v168 offset:8960
	ds_read_b128 v[72:75], v168 offset:9856
	ds_read_b128 v[76:79], v168 offset:17920
	ds_read_b128 v[80:83], v168 offset:18816
	ds_read_b128 v[84:87], v168 offset:5376
	ds_read_b128 v[88:91], v168 offset:6272
	ds_read_b128 v[92:95], v168 offset:14336
	ds_read_b128 v[100:103], v168 offset:15232
	ds_read_b128 v[68:71], v168 offset:1792
	ds_read_b128 v[64:67], v168 offset:2688
	ds_read_b128 v[134:137], v168 offset:10752
	ds_read_b128 v[148:151], v168 offset:11648
	ds_read_b128 v[152:155], v168 offset:19712
	ds_read_b128 v[156:159], v168 offset:20608
	ds_read_b128 v[120:123], v168 offset:4480
	ds_read_b128 v[96:99], v168 offset:3584
	ds_read_b128 v[160:163], v168 offset:7168
	ds_read_b128 v[170:173], v168 offset:8064
	ds_read_b128 v[124:127], v168 offset:13440
	ds_read_b128 v[174:177], v168 offset:12544
	ds_read_b128 v[178:181], v168 offset:16128
	ds_read_b128 v[182:185], v168 offset:17024
	ds_read_b128 v[186:189], v168 offset:21504
	s_waitcnt lgkmcnt(14)
	v_mul_f64 v[194:195], v[114:115], v[54:55]
	v_fmac_f64_e32 v[194:195], v[112:113], v[52:53]
	v_mul_f64 v[52:53], v[114:115], v[52:53]
	v_fma_f64 v[196:197], v[112:113], v[54:55], -v[52:53]
	s_waitcnt lgkmcnt(4)
	v_mul_f64 v[52:53], v[110:111], v[124:125]
	v_mul_f64 v[190:191], v[118:119], v[122:123]
	v_fma_f64 v[200:201], v[108:109], v[126:127], -v[52:53]
	v_mul_f64 v[52:53], v[106:107], v[76:77]
	v_fmac_f64_e32 v[190:191], v[116:117], v[120:121]
	v_mul_f64 v[120:121], v[118:119], v[120:121]
	v_fma_f64 v[204:205], v[104:105], v[78:79], -v[52:53]
	v_mul_f64 v[52:53], v[118:119], v[84:85]
	v_fma_f64 v[192:193], v[116:117], v[122:123], -v[120:121]
	v_fma_f64 v[120:121], v[116:117], v[86:87], -v[52:53]
	v_mul_f64 v[52:53], v[114:115], v[72:73]
	v_mul_f64 v[198:199], v[110:111], v[126:127]
	v_fma_f64 v[122:123], v[112:113], v[74:75], -v[52:53]
	v_mul_f64 v[52:53], v[110:111], v[92:93]
	v_fmac_f64_e32 v[198:199], v[108:109], v[124:125]
	v_mul_f64 v[208:209], v[114:115], v[74:75]
	v_fma_f64 v[124:125], v[108:109], v[94:95], -v[52:53]
	v_mul_f64 v[52:53], v[106:107], v[80:81]
	v_fmac_f64_e32 v[208:209], v[112:113], v[72:73]
	v_fma_f64 v[128:129], v[104:105], v[82:83], -v[52:53]
	v_mul_f64 v[52:53], v[118:119], v[88:89]
	v_mul_f64 v[146:147], v[114:115], v[150:151]
	;; [unrolled: 1-line block ×3, first 2 shown]
	v_fma_f64 v[132:133], v[116:117], v[90:91], -v[52:53]
	v_mul_f64 v[130:131], v[114:115], v[136:137]
	v_mul_f64 v[52:53], v[114:115], v[134:135]
	;; [unrolled: 1-line block ×3, first 2 shown]
	v_fmac_f64_e32 v[146:147], v[112:113], v[148:149]
	v_mul_f64 v[54:55], v[114:115], v[148:149]
	v_fma_f64 v[148:149], v[116:117], v[172:173], -v[72:73]
	s_waitcnt lgkmcnt(3)
	v_mul_f64 v[72:73], v[114:115], v[174:175]
	v_fmac_f64_e32 v[130:131], v[112:113], v[134:135]
	v_fma_f64 v[134:135], v[112:113], v[136:137], -v[52:53]
	v_fmac_f64_e32 v[140:141], v[108:109], v[100:101]
	v_mul_f64 v[52:53], v[110:111], v[100:101]
	v_mul_f64 v[144:145], v[106:107], v[154:155]
	v_fma_f64 v[100:101], v[112:113], v[150:151], -v[54:55]
	v_fma_f64 v[150:151], v[112:113], v[176:177], -v[72:73]
	s_waitcnt lgkmcnt(1)
	v_mul_f64 v[72:73], v[110:111], v[182:183]
	v_fma_f64 v[136:137], v[108:109], v[102:103], -v[52:53]
	v_fmac_f64_e32 v[144:145], v[104:105], v[152:153]
	v_mul_f64 v[52:53], v[106:107], v[152:153]
	v_fma_f64 v[152:153], v[108:109], v[184:185], -v[72:73]
	s_waitcnt lgkmcnt(0)
	v_mul_f64 v[72:73], v[106:107], v[186:187]
	v_fma_f64 v[138:139], v[104:105], v[154:155], -v[52:53]
	v_fma_f64 v[154:155], v[104:105], v[188:189], -v[72:73]
	v_add_f64 v[72:73], v[56:57], v[190:191]
	v_mul_f64 v[202:203], v[106:107], v[78:79]
	v_add_f64 v[72:73], v[72:73], v[194:195]
	v_fmac_f64_e32 v[202:203], v[104:105], v[76:77]
	v_add_f64 v[72:73], v[72:73], v[198:199]
	v_add_f64 v[76:77], v[72:73], v[202:203]
	v_add_f64 v[72:73], v[194:195], v[198:199]
	s_mov_b32 s12, 0x134454ff
	v_mul_f64 v[206:207], v[118:119], v[86:87]
	v_mul_f64 v[212:213], v[106:107], v[82:83]
	v_fma_f64 v[72:73], -0.5, v[72:73], v[56:57]
	v_add_f64 v[74:75], v[192:193], -v[204:205]
	s_mov_b32 s13, 0xbfee6f0e
	s_mov_b32 s0, 0x4755a5e
	;; [unrolled: 1-line block ×4, first 2 shown]
	v_fmac_f64_e32 v[206:207], v[116:117], v[84:85]
	v_fmac_f64_e32 v[212:213], v[104:105], v[80:81]
	v_fma_f64 v[80:81], s[12:13], v[74:75], v[72:73]
	v_add_f64 v[78:79], v[196:197], -v[200:201]
	s_mov_b32 s1, 0xbfe2cf23
	v_add_f64 v[82:83], v[190:191], -v[194:195]
	v_add_f64 v[84:85], v[202:203], -v[198:199]
	s_mov_b32 s14, 0x372fe950
	v_fmac_f64_e32 v[72:73], s[16:17], v[74:75]
	s_mov_b32 s19, 0x3fe2cf23
	s_mov_b32 s18, s0
	v_fmac_f64_e32 v[80:81], s[0:1], v[78:79]
	v_add_f64 v[82:83], v[82:83], v[84:85]
	s_mov_b32 s15, 0x3fd3c6ef
	v_fmac_f64_e32 v[72:73], s[18:19], v[78:79]
	v_fmac_f64_e32 v[80:81], s[14:15], v[82:83]
	;; [unrolled: 1-line block ×3, first 2 shown]
	v_add_f64 v[82:83], v[190:191], v[202:203]
	v_fmac_f64_e32 v[56:57], -0.5, v[82:83]
	v_fma_f64 v[84:85], s[16:17], v[78:79], v[56:57]
	v_fmac_f64_e32 v[56:57], s[12:13], v[78:79]
	v_fmac_f64_e32 v[84:85], s[0:1], v[74:75]
	;; [unrolled: 1-line block ×3, first 2 shown]
	v_add_f64 v[74:75], v[58:59], v[192:193]
	v_add_f64 v[74:75], v[74:75], v[196:197]
	v_add_f64 v[74:75], v[74:75], v[200:201]
	v_mul_f64 v[126:127], v[118:119], v[90:91]
	v_add_f64 v[82:83], v[194:195], -v[190:191]
	v_add_f64 v[86:87], v[198:199], -v[202:203]
	v_add_f64 v[78:79], v[74:75], v[204:205]
	v_add_f64 v[74:75], v[196:197], v[200:201]
	v_mul_f64 v[210:211], v[110:111], v[94:95]
	v_fmac_f64_e32 v[126:127], v[116:117], v[88:89]
	v_add_f64 v[82:83], v[82:83], v[86:87]
	v_fma_f64 v[74:75], -0.5, v[74:75], v[58:59]
	v_add_f64 v[88:89], v[190:191], -v[202:203]
	v_fmac_f64_e32 v[210:211], v[108:109], v[92:93]
	v_fmac_f64_e32 v[84:85], s[14:15], v[82:83]
	;; [unrolled: 1-line block ×3, first 2 shown]
	v_fma_f64 v[82:83], s[16:17], v[88:89], v[74:75]
	v_add_f64 v[90:91], v[194:195], -v[198:199]
	v_add_f64 v[86:87], v[192:193], -v[196:197]
	;; [unrolled: 1-line block ×3, first 2 shown]
	v_fmac_f64_e32 v[74:75], s[12:13], v[88:89]
	v_fmac_f64_e32 v[82:83], s[18:19], v[90:91]
	v_add_f64 v[86:87], v[86:87], v[92:93]
	v_fmac_f64_e32 v[74:75], s[0:1], v[90:91]
	v_fmac_f64_e32 v[82:83], s[14:15], v[86:87]
	;; [unrolled: 1-line block ×3, first 2 shown]
	v_add_f64 v[86:87], v[192:193], v[204:205]
	v_fmac_f64_e32 v[58:59], -0.5, v[86:87]
	v_fma_f64 v[86:87], s[12:13], v[90:91], v[58:59]
	v_fmac_f64_e32 v[58:59], s[16:17], v[90:91]
	v_fmac_f64_e32 v[86:87], s[18:19], v[88:89]
	;; [unrolled: 1-line block ×3, first 2 shown]
	v_add_f64 v[88:89], v[60:61], v[206:207]
	v_add_f64 v[92:93], v[196:197], -v[192:193]
	v_add_f64 v[94:95], v[200:201], -v[204:205]
	v_add_f64 v[88:89], v[88:89], v[208:209]
	v_mul_f64 v[54:55], v[110:111], v[178:179]
	v_add_f64 v[92:93], v[92:93], v[94:95]
	v_add_f64 v[88:89], v[88:89], v[210:211]
	v_mul_f64 v[142:143], v[118:119], v[162:163]
	v_mul_f64 v[52:53], v[118:119], v[160:161]
	v_fma_f64 v[102:103], v[108:109], v[180:181], -v[54:55]
	v_mul_f64 v[54:55], v[106:107], v[156:157]
	v_fmac_f64_e32 v[86:87], s[14:15], v[92:93]
	v_fmac_f64_e32 v[58:59], s[14:15], v[92:93]
	v_add_f64 v[92:93], v[88:89], v[212:213]
	v_add_f64 v[88:89], v[208:209], v[210:211]
	v_fmac_f64_e32 v[142:143], v[116:117], v[160:161]
	v_fma_f64 v[52:53], v[116:117], v[162:163], -v[52:53]
	v_mul_f64 v[164:165], v[110:111], v[180:181]
	v_mul_f64 v[166:167], v[106:107], v[158:159]
	v_fma_f64 v[162:163], v[104:105], v[158:159], -v[54:55]
	v_mul_f64 v[158:159], v[110:111], v[184:185]
	v_mul_f64 v[160:161], v[106:107], v[188:189]
	v_fma_f64 v[88:89], -0.5, v[88:89], v[60:61]
	v_add_f64 v[90:91], v[120:121], -v[128:129]
	v_fmac_f64_e32 v[164:165], v[108:109], v[178:179]
	v_fmac_f64_e32 v[166:167], v[104:105], v[156:157]
	;; [unrolled: 1-line block ×4, first 2 shown]
	v_fma_f64 v[108:109], s[12:13], v[90:91], v[88:89]
	v_add_f64 v[94:95], v[122:123], -v[124:125]
	v_add_f64 v[104:105], v[206:207], -v[208:209]
	;; [unrolled: 1-line block ×3, first 2 shown]
	v_fmac_f64_e32 v[88:89], s[16:17], v[90:91]
	v_fmac_f64_e32 v[108:109], s[0:1], v[94:95]
	v_add_f64 v[104:105], v[104:105], v[106:107]
	v_fmac_f64_e32 v[88:89], s[18:19], v[94:95]
	v_fmac_f64_e32 v[108:109], s[14:15], v[104:105]
	;; [unrolled: 1-line block ×3, first 2 shown]
	v_add_f64 v[104:105], v[206:207], v[212:213]
	v_mul_f64 v[156:157], v[114:115], v[176:177]
	v_fmac_f64_e32 v[60:61], -0.5, v[104:105]
	v_fmac_f64_e32 v[156:157], v[112:113], v[174:175]
	v_fma_f64 v[112:113], s[16:17], v[94:95], v[60:61]
	v_fmac_f64_e32 v[60:61], s[12:13], v[94:95]
	v_fmac_f64_e32 v[112:113], s[0:1], v[90:91]
	;; [unrolled: 1-line block ×3, first 2 shown]
	v_add_f64 v[90:91], v[62:63], v[120:121]
	v_add_f64 v[90:91], v[90:91], v[122:123]
	v_add_f64 v[104:105], v[208:209], -v[206:207]
	v_add_f64 v[106:107], v[210:211], -v[212:213]
	v_add_f64 v[90:91], v[90:91], v[124:125]
	v_add_f64 v[104:105], v[104:105], v[106:107]
	;; [unrolled: 1-line block ×4, first 2 shown]
	v_mul_f64 v[54:55], v[118:119], v[172:173]
	v_fmac_f64_e32 v[112:113], s[14:15], v[104:105]
	v_fmac_f64_e32 v[60:61], s[14:15], v[104:105]
	v_fma_f64 v[90:91], -0.5, v[90:91], v[62:63]
	v_add_f64 v[104:105], v[206:207], -v[212:213]
	v_fmac_f64_e32 v[54:55], v[116:117], v[170:171]
	v_fma_f64 v[110:111], s[16:17], v[104:105], v[90:91]
	v_add_f64 v[106:107], v[208:209], -v[210:211]
	v_add_f64 v[114:115], v[120:121], -v[122:123]
	v_add_f64 v[116:117], v[128:129], -v[124:125]
	v_fmac_f64_e32 v[90:91], s[12:13], v[104:105]
	v_fmac_f64_e32 v[110:111], s[18:19], v[106:107]
	v_add_f64 v[114:115], v[114:115], v[116:117]
	v_fmac_f64_e32 v[90:91], s[0:1], v[106:107]
	v_fmac_f64_e32 v[110:111], s[14:15], v[114:115]
	v_fmac_f64_e32 v[90:91], s[14:15], v[114:115]
	v_add_f64 v[114:115], v[120:121], v[128:129]
	v_fmac_f64_e32 v[62:63], -0.5, v[114:115]
	v_fma_f64 v[114:115], s[12:13], v[106:107], v[62:63]
	v_fmac_f64_e32 v[62:63], s[16:17], v[106:107]
	v_fmac_f64_e32 v[114:115], s[18:19], v[104:105]
	v_fmac_f64_e32 v[62:63], s[0:1], v[104:105]
	v_add_f64 v[104:105], v[68:69], v[126:127]
	v_add_f64 v[104:105], v[104:105], v[130:131]
	v_add_f64 v[116:117], v[122:123], -v[120:121]
	v_add_f64 v[118:119], v[124:125], -v[128:129]
	v_add_f64 v[104:105], v[104:105], v[140:141]
	v_add_f64 v[116:117], v[116:117], v[118:119]
	v_add_f64 v[120:121], v[104:105], v[144:145]
	v_add_f64 v[104:105], v[130:131], v[140:141]
	v_fmac_f64_e32 v[114:115], s[14:15], v[116:117]
	v_fmac_f64_e32 v[62:63], s[14:15], v[116:117]
	v_fma_f64 v[116:117], -0.5, v[104:105], v[68:69]
	v_add_f64 v[104:105], v[132:133], -v[138:139]
	v_fma_f64 v[124:125], s[12:13], v[104:105], v[116:117]
	v_add_f64 v[106:107], v[134:135], -v[136:137]
	v_add_f64 v[118:119], v[126:127], -v[130:131]
	v_add_f64 v[122:123], v[144:145], -v[140:141]
	v_fmac_f64_e32 v[116:117], s[16:17], v[104:105]
	v_fmac_f64_e32 v[124:125], s[0:1], v[106:107]
	v_add_f64 v[118:119], v[118:119], v[122:123]
	v_fmac_f64_e32 v[116:117], s[18:19], v[106:107]
	v_fmac_f64_e32 v[124:125], s[14:15], v[118:119]
	v_fmac_f64_e32 v[116:117], s[14:15], v[118:119]
	v_add_f64 v[118:119], v[126:127], v[144:145]
	v_fmac_f64_e32 v[68:69], -0.5, v[118:119]
	v_fma_f64 v[128:129], s[16:17], v[106:107], v[68:69]
	v_fmac_f64_e32 v[68:69], s[12:13], v[106:107]
	v_fmac_f64_e32 v[128:129], s[0:1], v[104:105]
	v_fmac_f64_e32 v[68:69], s[18:19], v[104:105]
	v_add_f64 v[104:105], v[70:71], v[132:133]
	v_add_f64 v[104:105], v[104:105], v[134:135]
	v_add_f64 v[118:119], v[130:131], -v[126:127]
	v_add_f64 v[122:123], v[140:141], -v[144:145]
	v_add_f64 v[104:105], v[104:105], v[136:137]
	v_add_f64 v[118:119], v[118:119], v[122:123]
	v_add_f64 v[122:123], v[104:105], v[138:139]
	v_add_f64 v[104:105], v[134:135], v[136:137]
	v_fmac_f64_e32 v[128:129], s[14:15], v[118:119]
	v_fmac_f64_e32 v[68:69], s[14:15], v[118:119]
	v_fma_f64 v[118:119], -0.5, v[104:105], v[70:71]
	v_add_f64 v[104:105], v[126:127], -v[144:145]
	;; [unrolled: 28-line block ×4, first 2 shown]
	v_fma_f64 v[142:143], s[16:17], v[104:105], v[134:135]
	v_add_f64 v[106:107], v[146:147], -v[164:165]
	v_add_f64 v[146:147], v[52:53], -v[100:101]
	v_add_f64 v[164:165], v[162:163], -v[102:103]
	v_fmac_f64_e32 v[134:135], s[12:13], v[104:105]
	v_fmac_f64_e32 v[142:143], s[18:19], v[106:107]
	v_add_f64 v[146:147], v[146:147], v[164:165]
	v_fmac_f64_e32 v[134:135], s[0:1], v[106:107]
	v_fmac_f64_e32 v[142:143], s[14:15], v[146:147]
	;; [unrolled: 1-line block ×3, first 2 shown]
	v_add_f64 v[146:147], v[52:53], v[162:163]
	v_fmac_f64_e32 v[66:67], -0.5, v[146:147]
	v_fma_f64 v[146:147], s[12:13], v[106:107], v[66:67]
	v_add_f64 v[52:53], v[100:101], -v[52:53]
	v_add_f64 v[100:101], v[102:103], -v[162:163]
	v_fmac_f64_e32 v[66:67], s[16:17], v[106:107]
	v_fmac_f64_e32 v[146:147], s[18:19], v[104:105]
	v_add_f64 v[52:53], v[52:53], v[100:101]
	v_fmac_f64_e32 v[66:67], s[0:1], v[104:105]
	v_fmac_f64_e32 v[146:147], s[14:15], v[52:53]
	;; [unrolled: 1-line block ×3, first 2 shown]
	v_add_f64 v[52:53], v[96:97], v[54:55]
	v_add_f64 v[52:53], v[52:53], v[156:157]
	;; [unrolled: 1-line block ×5, first 2 shown]
	v_fma_f64 v[100:101], -0.5, v[52:53], v[96:97]
	v_add_f64 v[102:103], v[148:149], -v[154:155]
	v_fma_f64 v[52:53], s[12:13], v[102:103], v[100:101]
	v_add_f64 v[106:107], v[150:151], -v[152:153]
	v_add_f64 v[104:105], v[54:55], -v[156:157]
	;; [unrolled: 1-line block ×3, first 2 shown]
	v_fmac_f64_e32 v[100:101], s[16:17], v[102:103]
	v_fmac_f64_e32 v[52:53], s[0:1], v[106:107]
	v_add_f64 v[104:105], v[104:105], v[164:165]
	v_fmac_f64_e32 v[100:101], s[18:19], v[106:107]
	v_fmac_f64_e32 v[52:53], s[14:15], v[104:105]
	;; [unrolled: 1-line block ×3, first 2 shown]
	v_add_f64 v[104:105], v[54:55], v[160:161]
	v_fmac_f64_e32 v[96:97], -0.5, v[104:105]
	v_fma_f64 v[104:105], s[16:17], v[106:107], v[96:97]
	v_fmac_f64_e32 v[96:97], s[12:13], v[106:107]
	v_fmac_f64_e32 v[104:105], s[0:1], v[102:103]
	;; [unrolled: 1-line block ×3, first 2 shown]
	v_add_f64 v[102:103], v[98:99], v[148:149]
	v_add_f64 v[164:165], v[156:157], -v[54:55]
	v_add_f64 v[166:167], v[158:159], -v[160:161]
	v_add_f64 v[102:103], v[102:103], v[150:151]
	v_add_f64 v[164:165], v[164:165], v[166:167]
	;; [unrolled: 1-line block ×3, first 2 shown]
	v_fmac_f64_e32 v[104:105], s[14:15], v[164:165]
	v_fmac_f64_e32 v[96:97], s[14:15], v[164:165]
	v_add_f64 v[164:165], v[102:103], v[154:155]
	v_add_f64 v[102:103], v[150:151], v[152:153]
	v_fma_f64 v[102:103], -0.5, v[102:103], v[98:99]
	v_add_f64 v[160:161], v[54:55], -v[160:161]
	v_fma_f64 v[54:55], s[16:17], v[160:161], v[102:103]
	v_add_f64 v[156:157], v[156:157], -v[158:159]
	v_add_f64 v[106:107], v[148:149], -v[150:151]
	;; [unrolled: 1-line block ×3, first 2 shown]
	v_fmac_f64_e32 v[102:103], s[12:13], v[160:161]
	v_fmac_f64_e32 v[54:55], s[18:19], v[156:157]
	v_add_f64 v[106:107], v[106:107], v[158:159]
	v_fmac_f64_e32 v[102:103], s[0:1], v[156:157]
	v_fmac_f64_e32 v[54:55], s[14:15], v[106:107]
	;; [unrolled: 1-line block ×3, first 2 shown]
	v_add_f64 v[106:107], v[148:149], v[154:155]
	v_fmac_f64_e32 v[98:99], -0.5, v[106:107]
	v_fma_f64 v[106:107], s[12:13], v[156:157], v[98:99]
	v_add_f64 v[148:149], v[150:151], -v[148:149]
	v_add_f64 v[150:151], v[152:153], -v[154:155]
	v_fmac_f64_e32 v[98:99], s[16:17], v[156:157]
	v_fmac_f64_e32 v[106:107], s[18:19], v[160:161]
	v_add_f64 v[148:149], v[148:149], v[150:151]
	v_fmac_f64_e32 v[98:99], s[0:1], v[160:161]
	v_fmac_f64_e32 v[106:107], s[14:15], v[148:149]
	;; [unrolled: 1-line block ×3, first 2 shown]
	v_accvgpr_read_b32 v148, a142
	s_waitcnt lgkmcnt(0)
	; wave barrier
	ds_write_b128 v148, v[76:79]
	ds_write_b128 v148, v[80:83] offset:128
	ds_write_b128 v148, v[84:87] offset:256
	ds_write_b128 v148, v[56:59] offset:384
	ds_write_b128 v148, v[72:75] offset:512
	v_accvgpr_read_b32 v56, a143
	ds_write_b128 v56, v[92:95]
	ds_write_b128 v56, v[108:111] offset:128
	ds_write_b128 v56, v[112:115] offset:256
	ds_write_b128 v56, v[60:63] offset:384
	ds_write_b128 v56, v[88:91] offset:512
	v_accvgpr_read_b32 v56, a144
	;; [unrolled: 6-line block ×4, first 2 shown]
	ds_write_b128 v56, v[162:165]
	ds_write_b128 v56, v[52:55] offset:128
	ds_write_b128 v56, v[104:107] offset:256
	;; [unrolled: 1-line block ×4, first 2 shown]
	s_waitcnt lgkmcnt(0)
	; wave barrier
	s_waitcnt lgkmcnt(0)
	ds_read_b128 v[64:67], v168
	ds_read_b128 v[60:63], v168 offset:896
	ds_read_b128 v[156:159], v168 offset:6400
	;; [unrolled: 1-line block ×20, first 2 shown]
	s_and_saveexec_b64 s[0:1], s[2:3]
	s_cbranch_execz .LBB0_35
; %bb.34:
	ds_read_b128 v[52:55], v168 offset:2688
	ds_read_b128 v[104:107], v168 offset:5888
	;; [unrolled: 1-line block ×7, first 2 shown]
.LBB0_35:
	s_or_b64 exec, exec, s[0:1]
	v_accvgpr_read_b32 v140, a180
	v_accvgpr_read_b32 v142, a182
	;; [unrolled: 1-line block ×5, first 2 shown]
	s_waitcnt lgkmcnt(12)
	v_mul_f64 v[136:137], v[142:143], v[162:163]
	v_mul_f64 v[138:139], v[142:143], v[160:161]
	v_accvgpr_read_b32 v146, a174
	v_accvgpr_read_b32 v147, a175
	;; [unrolled: 1-line block ×3, first 2 shown]
	v_fmac_f64_e32 v[136:137], v[140:141], v[160:161]
	v_fma_f64 v[138:139], v[140:141], v[162:163], -v[138:139]
	v_accvgpr_read_b32 v145, a173
	v_mul_f64 v[140:141], v[146:147], v[158:159]
	v_mul_f64 v[142:143], v[146:147], v[156:157]
	v_accvgpr_read_b32 v150, a170
	v_accvgpr_read_b32 v151, a171
	v_fmac_f64_e32 v[140:141], v[144:145], v[156:157]
	v_fma_f64 v[142:143], v[144:145], v[158:159], -v[142:143]
	s_waitcnt lgkmcnt(8)
	v_mul_f64 v[144:145], v[150:151], v[238:239]
	v_mul_f64 v[146:147], v[150:151], v[236:237]
	v_accvgpr_read_b32 v150, a164
	v_accvgpr_read_b32 v149, a169
	;; [unrolled: 1-line block ×4, first 2 shown]
	v_fmac_f64_e32 v[144:145], v[148:149], v[236:237]
	v_fma_f64 v[146:147], v[148:149], v[238:239], -v[146:147]
	v_accvgpr_read_b32 v151, a165
	v_mul_f64 v[148:149], v[152:153], v[134:135]
	v_fmac_f64_e32 v[148:149], v[150:151], v[132:133]
	v_mul_f64 v[132:133], v[152:153], v[132:133]
	v_accvgpr_read_b32 v152, a192
	v_accvgpr_read_b32 v154, a194
	;; [unrolled: 1-line block ×3, first 2 shown]
	v_fma_f64 v[132:133], v[150:151], v[134:135], -v[132:133]
	s_waitcnt lgkmcnt(4)
	v_mul_f64 v[134:135], v[154:155], v[230:231]
	v_mul_f64 v[150:151], v[154:155], v[228:229]
	v_accvgpr_read_b32 v154, a176
	v_accvgpr_read_b32 v153, a193
	;; [unrolled: 1-line block ×4, first 2 shown]
	v_fmac_f64_e32 v[134:135], v[152:153], v[228:229]
	v_fma_f64 v[150:151], v[152:153], v[230:231], -v[150:151]
	v_accvgpr_read_b32 v155, a177
	v_mul_f64 v[152:153], v[156:157], v[126:127]
	v_accvgpr_read_b32 v158, a208
	v_fmac_f64_e32 v[152:153], v[154:155], v[124:125]
	v_mul_f64 v[124:125], v[156:157], v[124:125]
	v_accvgpr_read_b32 v160, a210
	v_accvgpr_read_b32 v161, a211
	v_fma_f64 v[154:155], v[154:155], v[126:127], -v[124:125]
	v_accvgpr_read_b32 v159, a209
	v_mul_f64 v[156:157], v[160:161], v[130:131]
	v_mul_f64 v[124:125], v[160:161], v[128:129]
	v_fmac_f64_e32 v[156:157], v[158:159], v[128:129]
	v_fma_f64 v[128:129], v[158:159], v[130:131], -v[124:125]
	v_accvgpr_read_b32 v124, a204
	v_accvgpr_read_b32 v126, a206
	;; [unrolled: 1-line block ×4, first 2 shown]
	v_mul_f64 v[130:131], v[126:127], v[114:115]
	v_fmac_f64_e32 v[130:131], v[124:125], v[112:113]
	v_mul_f64 v[112:113], v[126:127], v[112:113]
	v_fma_f64 v[158:159], v[124:125], v[114:115], -v[112:113]
	v_accvgpr_read_b32 v124, a200
	v_accvgpr_read_b32 v126, a202
	;; [unrolled: 1-line block ×4, first 2 shown]
	v_mul_f64 v[112:113], v[126:127], v[120:121]
	v_fma_f64 v[162:163], v[124:125], v[122:123], -v[112:113]
	v_accvgpr_read_b32 v112, a196
	v_accvgpr_read_b32 v114, a198
	;; [unrolled: 1-line block ×4, first 2 shown]
	v_mul_f64 v[164:165], v[114:115], v[110:111]
	v_fmac_f64_e32 v[164:165], v[112:113], v[108:109]
	v_mul_f64 v[108:109], v[114:115], v[108:109]
	v_fma_f64 v[166:167], v[112:113], v[110:111], -v[108:109]
	v_accvgpr_read_b32 v110, a216
	v_accvgpr_read_b32 v112, a218
	;; [unrolled: 1-line block ×4, first 2 shown]
	s_waitcnt lgkmcnt(2)
	v_mul_f64 v[170:171], v[112:113], v[118:119]
	v_mul_f64 v[108:109], v[112:113], v[116:117]
	v_fmac_f64_e32 v[170:171], v[110:111], v[116:117]
	v_fma_f64 v[172:173], v[110:111], v[118:119], -v[108:109]
	v_accvgpr_read_b32 v108, a212
	v_accvgpr_read_b32 v110, a214
	v_accvgpr_read_b32 v111, a215
	v_accvgpr_read_b32 v109, a213
	v_mul_f64 v[174:175], v[110:111], v[94:95]
	v_fmac_f64_e32 v[174:175], v[108:109], v[92:93]
	v_mul_f64 v[92:93], v[110:111], v[92:93]
	v_fma_f64 v[176:177], v[108:109], v[94:95], -v[92:93]
	v_accvgpr_read_b32 v108, a232
	v_accvgpr_read_b32 v110, a234
	v_accvgpr_read_b32 v111, a235
	v_accvgpr_read_b32 v109, a233
	v_mul_f64 v[92:93], v[110:111], v[90:91]
	v_fmac_f64_e32 v[92:93], v[108:109], v[88:89]
	v_mul_f64 v[88:89], v[110:111], v[88:89]
	v_fma_f64 v[110:111], v[108:109], v[90:91], -v[88:89]
	v_accvgpr_read_b32 v88, a228
	v_accvgpr_read_b32 v90, a230
	v_accvgpr_read_b32 v91, a231
	v_accvgpr_read_b32 v89, a229
	v_mul_f64 v[94:95], v[90:91], v[86:87]
	v_fmac_f64_e32 v[94:95], v[88:89], v[84:85]
	v_mul_f64 v[84:85], v[90:91], v[84:85]
	v_fma_f64 v[112:113], v[88:89], v[86:87], -v[84:85]
	v_accvgpr_read_b32 v84, a224
	v_accvgpr_read_b32 v86, a226
	v_accvgpr_read_b32 v87, a227
	v_accvgpr_read_b32 v85, a225
	v_mul_f64 v[108:109], v[86:87], v[82:83]
	v_fmac_f64_e32 v[108:109], v[84:85], v[80:81]
	v_mul_f64 v[80:81], v[86:87], v[80:81]
	v_fma_f64 v[114:115], v[84:85], v[82:83], -v[80:81]
	v_accvgpr_read_b32 v80, a220
	v_accvgpr_read_b32 v82, a222
	v_accvgpr_read_b32 v83, a223
	v_accvgpr_read_b32 v81, a221
	v_mul_f64 v[116:117], v[82:83], v[78:79]
	v_fmac_f64_e32 v[116:117], v[80:81], v[76:77]
	v_mul_f64 v[76:77], v[82:83], v[76:77]
	v_fma_f64 v[118:119], v[80:81], v[78:79], -v[76:77]
	v_accvgpr_read_b32 v76, a240
	v_mul_f64 v[160:161], v[126:127], v[122:123]
	v_accvgpr_read_b32 v78, a242
	v_accvgpr_read_b32 v79, a243
	v_fmac_f64_e32 v[160:161], v[124:125], v[120:121]
	v_accvgpr_read_b32 v77, a241
	s_waitcnt lgkmcnt(1)
	v_mul_f64 v[120:121], v[78:79], v[74:75]
	v_fmac_f64_e32 v[120:121], v[76:77], v[72:73]
	v_mul_f64 v[72:73], v[78:79], v[72:73]
	v_fma_f64 v[122:123], v[76:77], v[74:75], -v[72:73]
	v_accvgpr_read_b32 v72, a236
	v_accvgpr_read_b32 v74, a238
	;; [unrolled: 1-line block ×4, first 2 shown]
	s_waitcnt lgkmcnt(0)
	v_mul_f64 v[124:125], v[74:75], v[70:71]
	v_fmac_f64_e32 v[124:125], v[72:73], v[68:69]
	v_mul_f64 v[68:69], v[74:75], v[68:69]
	v_fma_f64 v[126:127], v[72:73], v[70:71], -v[68:69]
	v_add_f64 v[68:69], v[136:137], v[152:153]
	v_add_f64 v[76:77], v[140:141], v[134:135]
	;; [unrolled: 1-line block ×6, first 2 shown]
	v_add_f64 v[90:91], v[132:133], -v[146:147]
	v_add_f64 v[132:133], v[76:77], v[68:69]
	v_add_f64 v[72:73], v[136:137], -v[152:153]
	v_add_f64 v[80:81], v[140:141], -v[134:135]
	v_add_f64 v[134:135], v[78:79], v[70:71]
	v_add_f64 v[136:137], v[76:77], -v[68:69]
	v_add_f64 v[68:69], v[68:69], -v[84:85]
	;; [unrolled: 1-line block ×3, first 2 shown]
	v_add_f64 v[84:85], v[84:85], v[132:133]
	v_add_f64 v[74:75], v[138:139], -v[154:155]
	v_add_f64 v[82:83], v[142:143], -v[150:151]
	;; [unrolled: 1-line block ×6, first 2 shown]
	v_add_f64 v[86:87], v[86:87], v[134:135]
	v_add_f64 v[64:65], v[64:65], v[84:85]
	s_mov_b32 s14, 0x37e14327
	s_mov_b32 s16, 0x36b3c0b5
	;; [unrolled: 1-line block ×5, first 2 shown]
	v_add_f64 v[140:141], v[88:89], v[80:81]
	v_add_f64 v[142:143], v[90:91], v[82:83]
	v_add_f64 v[144:145], v[88:89], -v[80:81]
	v_add_f64 v[146:147], v[90:91], -v[82:83]
	;; [unrolled: 1-line block ×4, first 2 shown]
	v_add_f64 v[66:67], v[66:67], v[86:87]
	s_mov_b32 s15, 0x3fe948f6
	s_mov_b32 s17, 0x3fac98ee
	;; [unrolled: 1-line block ×5, first 2 shown]
	v_mov_b64_e32 v[148:149], v[64:65]
	s_mov_b32 s12, 0x5476071b
	s_mov_b32 s28, 0xb247c609
	v_add_f64 v[88:89], v[72:73], -v[88:89]
	v_add_f64 v[90:91], v[74:75], -v[90:91]
	v_add_f64 v[72:73], v[140:141], v[72:73]
	v_add_f64 v[74:75], v[142:143], v[74:75]
	v_mul_f64 v[68:69], v[68:69], s[14:15]
	v_mul_f64 v[70:71], v[70:71], s[14:15]
	;; [unrolled: 1-line block ×8, first 2 shown]
	v_fmac_f64_e32 v[148:149], s[26:27], v[84:85]
	v_mov_b64_e32 v[84:85], v[66:67]
	s_mov_b32 s13, 0x3fe77f67
	s_mov_b32 s21, 0xbfe77f67
	;; [unrolled: 1-line block ×7, first 2 shown]
	v_fmac_f64_e32 v[84:85], s[26:27], v[86:87]
	v_fma_f64 v[86:87], v[136:137], s[12:13], -v[132:133]
	v_fma_f64 v[132:133], v[138:139], s[12:13], -v[134:135]
	;; [unrolled: 1-line block ×3, first 2 shown]
	v_fmac_f64_e32 v[68:69], s[16:17], v[76:77]
	v_fma_f64 v[76:77], v[138:139], s[20:21], -v[70:71]
	v_fma_f64 v[136:137], v[80:81], s[0:1], -v[140:141]
	v_fmac_f64_e32 v[140:141], s[28:29], v[88:89]
	v_fma_f64 v[80:81], v[82:83], s[0:1], -v[142:143]
	v_fmac_f64_e32 v[142:143], s[28:29], v[90:91]
	v_fma_f64 v[88:89], v[88:89], s[24:25], -v[144:145]
	v_fma_f64 v[90:91], v[90:91], s[24:25], -v[146:147]
	s_mov_b32 s23, 0xbfdc38aa
	v_fmac_f64_e32 v[70:71], s[16:17], v[78:79]
	v_add_f64 v[138:139], v[68:69], v[148:149]
	v_add_f64 v[82:83], v[86:87], v[148:149]
	;; [unrolled: 1-line block ×5, first 2 shown]
	v_fmac_f64_e32 v[142:143], s[22:23], v[74:75]
	v_fmac_f64_e32 v[136:137], s[22:23], v[72:73]
	;; [unrolled: 1-line block ×5, first 2 shown]
	v_add_f64 v[144:145], v[70:71], v[84:85]
	v_fmac_f64_e32 v[140:141], s[22:23], v[72:73]
	v_add_f64 v[68:69], v[142:143], v[138:139]
	v_add_f64 v[72:73], v[90:91], v[132:133]
	v_add_f64 v[74:75], v[134:135], -v[88:89]
	v_add_f64 v[76:77], v[82:83], -v[80:81]
	v_add_f64 v[78:79], v[136:137], v[86:87]
	v_add_f64 v[80:81], v[80:81], v[82:83]
	v_add_f64 v[82:83], v[86:87], -v[136:137]
	v_add_f64 v[84:85], v[132:133], -v[90:91]
	v_add_f64 v[86:87], v[88:89], v[134:135]
	v_add_f64 v[88:89], v[138:139], -v[142:143]
	v_add_f64 v[132:133], v[156:157], v[174:175]
	v_add_f64 v[138:139], v[130:131], v[170:171]
	v_add_f64 v[70:71], v[144:145], -v[140:141]
	v_add_f64 v[90:91], v[140:141], v[144:145]
	v_add_f64 v[134:135], v[128:129], v[176:177]
	v_add_f64 v[140:141], v[158:159], v[172:173]
	v_add_f64 v[144:145], v[160:161], v[164:165]
	v_add_f64 v[152:153], v[138:139], v[132:133]
	v_add_f64 v[136:137], v[156:157], -v[174:175]
	v_add_f64 v[146:147], v[162:163], v[166:167]
	v_add_f64 v[154:155], v[140:141], v[134:135]
	v_add_f64 v[156:157], v[138:139], -v[132:133]
	v_add_f64 v[132:133], v[132:133], -v[144:145]
	;; [unrolled: 1-line block ×3, first 2 shown]
	v_add_f64 v[144:145], v[144:145], v[152:153]
	v_add_f64 v[128:129], v[128:129], -v[176:177]
	v_add_f64 v[142:143], v[158:159], -v[172:173]
	;; [unrolled: 1-line block ×6, first 2 shown]
	v_add_f64 v[146:147], v[146:147], v[154:155]
	v_add_f64 v[60:61], v[60:61], v[144:145]
	v_add_f64 v[130:131], v[130:131], -v[170:171]
	v_add_f64 v[148:149], v[164:165], -v[160:161]
	v_add_f64 v[162:163], v[150:151], v[142:143]
	v_add_f64 v[166:167], v[150:151], -v[142:143]
	v_add_f64 v[142:143], v[142:143], -v[128:129]
	v_add_f64 v[62:63], v[62:63], v[146:147]
	v_mov_b64_e32 v[170:171], v[60:61]
	v_add_f64 v[160:161], v[148:149], v[130:131]
	v_add_f64 v[164:165], v[148:149], -v[130:131]
	v_add_f64 v[150:151], v[128:129], -v[150:151]
	;; [unrolled: 1-line block ×3, first 2 shown]
	v_add_f64 v[128:129], v[162:163], v[128:129]
	v_mul_f64 v[132:133], v[132:133], s[14:15]
	v_mul_f64 v[134:135], v[134:135], s[14:15]
	;; [unrolled: 1-line block ×6, first 2 shown]
	v_fmac_f64_e32 v[170:171], s[26:27], v[144:145]
	v_mov_b64_e32 v[144:145], v[62:63]
	v_add_f64 v[148:149], v[136:137], -v[148:149]
	v_add_f64 v[136:137], v[160:161], v[136:137]
	v_mul_f64 v[160:161], v[164:165], s[18:19]
	v_mul_f64 v[164:165], v[130:131], s[0:1]
	v_fmac_f64_e32 v[144:145], s[26:27], v[146:147]
	v_fma_f64 v[146:147], v[156:157], s[12:13], -v[152:153]
	v_fma_f64 v[152:153], v[158:159], s[12:13], -v[154:155]
	;; [unrolled: 1-line block ×3, first 2 shown]
	v_fmac_f64_e32 v[132:133], s[16:17], v[138:139]
	v_fma_f64 v[138:139], v[158:159], s[20:21], -v[134:135]
	v_fmac_f64_e32 v[134:135], s[16:17], v[140:141]
	v_fma_f64 v[140:141], v[142:143], s[0:1], -v[162:163]
	;; [unrolled: 2-line block ×3, first 2 shown]
	v_fma_f64 v[156:157], v[130:131], s[0:1], -v[160:161]
	v_fmac_f64_e32 v[160:161], s[28:29], v[148:149]
	v_fma_f64 v[148:149], v[148:149], s[24:25], -v[164:165]
	v_add_f64 v[142:143], v[146:147], v[170:171]
	v_add_f64 v[146:147], v[152:153], v[144:145]
	;; [unrolled: 1-line block ×3, first 2 shown]
	v_fmac_f64_e32 v[150:151], s[22:23], v[128:129]
	v_add_f64 v[158:159], v[132:133], v[170:171]
	v_add_f64 v[164:165], v[134:135], v[144:145]
	;; [unrolled: 1-line block ×3, first 2 shown]
	v_fmac_f64_e32 v[156:157], s[22:23], v[136:137]
	v_fmac_f64_e32 v[140:141], s[22:23], v[128:129]
	;; [unrolled: 1-line block ×3, first 2 shown]
	v_add_f64 v[132:133], v[150:151], v[152:153]
	v_add_f64 v[144:145], v[152:153], -v[150:151]
	v_add_f64 v[152:153], v[92:93], v[124:125]
	v_add_f64 v[92:93], v[92:93], -v[124:125]
	v_add_f64 v[124:125], v[94:95], v[120:121]
	v_fmac_f64_e32 v[160:161], s[22:23], v[136:137]
	v_add_f64 v[134:135], v[154:155], -v[148:149]
	v_add_f64 v[136:137], v[142:143], -v[140:141]
	v_add_f64 v[138:139], v[156:157], v[146:147]
	v_add_f64 v[140:141], v[140:141], v[142:143]
	v_add_f64 v[142:143], v[146:147], -v[156:157]
	v_add_f64 v[146:147], v[148:149], v[154:155]
	v_add_f64 v[154:155], v[110:111], v[126:127]
	v_add_f64 v[110:111], v[110:111], -v[126:127]
	v_add_f64 v[126:127], v[112:113], v[122:123]
	v_add_f64 v[94:95], v[94:95], -v[120:121]
	;; [unrolled: 2-line block ×5, first 2 shown]
	v_add_f64 v[118:119], v[126:127], v[154:155]
	v_add_f64 v[116:117], v[120:121], v[116:117]
	v_fmac_f64_e32 v[162:163], s[22:23], v[128:129]
	v_add_f64 v[118:119], v[122:123], v[118:119]
	v_add_f64 v[56:57], v[56:57], v[116:117]
	v_add_f64 v[128:129], v[162:163], v[158:159]
	v_add_f64 v[148:149], v[158:159], -v[162:163]
	v_add_f64 v[156:157], v[124:125], -v[152:153]
	;; [unrolled: 1-line block ×7, first 2 shown]
	v_add_f64 v[58:59], v[58:59], v[118:119]
	v_mov_b64_e32 v[170:171], v[56:57]
	v_add_f64 v[130:131], v[164:165], -v[160:161]
	v_add_f64 v[150:151], v[160:161], v[164:165]
	v_add_f64 v[160:161], v[108:109], v[94:95]
	;; [unrolled: 1-line block ×3, first 2 shown]
	v_add_f64 v[164:165], v[108:109], -v[94:95]
	v_add_f64 v[166:167], v[114:115], -v[112:113]
	;; [unrolled: 1-line block ×4, first 2 shown]
	v_mul_f64 v[120:121], v[152:153], s[14:15]
	v_mul_f64 v[122:123], v[154:155], s[14:15]
	;; [unrolled: 1-line block ×4, first 2 shown]
	v_fmac_f64_e32 v[170:171], s[26:27], v[116:117]
	v_mov_b64_e32 v[116:117], v[58:59]
	v_add_f64 v[108:109], v[92:93], -v[108:109]
	v_add_f64 v[114:115], v[110:111], -v[114:115]
	v_add_f64 v[92:93], v[160:161], v[92:93]
	v_add_f64 v[110:111], v[162:163], v[110:111]
	v_mul_f64 v[160:161], v[164:165], s[18:19]
	v_mul_f64 v[162:163], v[166:167], s[18:19]
	;; [unrolled: 1-line block ×4, first 2 shown]
	v_fmac_f64_e32 v[116:117], s[26:27], v[118:119]
	v_fma_f64 v[118:119], v[156:157], s[12:13], -v[152:153]
	v_fma_f64 v[152:153], v[158:159], s[12:13], -v[154:155]
	;; [unrolled: 1-line block ×3, first 2 shown]
	v_fmac_f64_e32 v[120:121], s[16:17], v[124:125]
	v_fma_f64 v[124:125], v[158:159], s[20:21], -v[122:123]
	v_fmac_f64_e32 v[122:123], s[16:17], v[126:127]
	v_fma_f64 v[126:127], v[94:95], s[0:1], -v[160:161]
	;; [unrolled: 2-line block ×4, first 2 shown]
	v_fma_f64 v[164:165], v[114:115], s[24:25], -v[166:167]
	v_add_f64 v[166:167], v[120:121], v[170:171]
	v_add_f64 v[120:121], v[152:153], v[116:117]
	v_accvgpr_read_b32 v152, a147
	v_add_f64 v[172:173], v[122:123], v[116:117]
	v_add_f64 v[118:119], v[118:119], v[170:171]
	;; [unrolled: 1-line block ×4, first 2 shown]
	v_fmac_f64_e32 v[160:161], s[22:23], v[92:93]
	v_fmac_f64_e32 v[162:163], s[22:23], v[110:111]
	;; [unrolled: 1-line block ×6, first 2 shown]
	s_waitcnt lgkmcnt(0)
	; wave barrier
	ds_write_b128 v152, v[64:67]
	ds_write_b128 v152, v[68:71] offset:640
	ds_write_b128 v152, v[72:75] offset:1280
	;; [unrolled: 1-line block ×6, first 2 shown]
	v_accvgpr_read_b32 v64, a18
	v_add_f64 v[92:93], v[162:163], v[166:167]
	v_add_f64 v[94:95], v[172:173], -v[160:161]
	v_add_f64 v[108:109], v[164:165], v[122:123]
	v_add_f64 v[110:111], v[124:125], -v[158:159]
	v_add_f64 v[112:113], v[118:119], -v[156:157]
	v_add_f64 v[114:115], v[126:127], v[120:121]
	v_add_f64 v[116:117], v[156:157], v[118:119]
	v_add_f64 v[118:119], v[120:121], -v[126:127]
	v_add_f64 v[120:121], v[122:123], -v[164:165]
	v_add_f64 v[122:123], v[158:159], v[124:125]
	v_add_f64 v[124:125], v[166:167], -v[162:163]
	v_add_f64 v[126:127], v[160:161], v[172:173]
	ds_write_b128 v64, v[60:63]
	ds_write_b128 v64, v[128:131] offset:640
	ds_write_b128 v64, v[132:135] offset:1280
	;; [unrolled: 1-line block ×6, first 2 shown]
	ds_write_b128 v169, v[56:59]
	ds_write_b128 v169, v[92:95] offset:640
	ds_write_b128 v169, v[108:111] offset:1280
	;; [unrolled: 1-line block ×6, first 2 shown]
	s_and_saveexec_b64 s[30:31], s[2:3]
	s_cbranch_execz .LBB0_37
; %bb.36:
	v_accvgpr_read_b32 v116, a184
	v_accvgpr_read_b32 v80, a252
	;; [unrolled: 1-line block ×9, first 2 shown]
	v_mul_f64 v[58:59], v[118:119], v[82:83]
	v_accvgpr_read_b32 v108, a148
	v_accvgpr_read_b32 v90, a156
	;; [unrolled: 1-line block ×6, first 2 shown]
	v_fmac_f64_e32 v[58:59], v[116:117], v[80:81]
	v_accvgpr_read_b32 v110, a150
	v_accvgpr_read_b32 v111, a151
	;; [unrolled: 1-line block ×8, first 2 shown]
	v_mul_f64 v[80:81], v[118:119], v[80:81]
	v_accvgpr_read_b32 v85, a161
	v_mul_f64 v[56:57], v[86:87], v[106:107]
	v_accvgpr_read_b32 v109, a149
	;; [unrolled: 2-line block ×3, first 2 shown]
	v_accvgpr_read_b32 v115, a155
	v_accvgpr_read_b32 v91, a157
	;; [unrolled: 1-line block ×5, first 2 shown]
	v_fma_f64 v[80:81], v[116:117], v[82:83], -v[80:81]
	v_mul_f64 v[82:83], v[86:87], v[104:105]
	v_mul_f64 v[86:87], v[122:123], v[124:125]
	;; [unrolled: 1-line block ×3, first 2 shown]
	v_fmac_f64_e32 v[62:63], v[108:109], v[48:49]
	v_accvgpr_read_b32 v113, a153
	v_mul_f64 v[70:71], v[92:93], v[98:99]
	v_fma_f64 v[82:83], v[84:85], v[106:107], -v[82:83]
	v_fma_f64 v[86:87], v[120:121], v[126:127], -v[86:87]
	;; [unrolled: 1-line block ×3, first 2 shown]
	v_mul_f64 v[94:95], v[114:115], v[100:101]
	v_mul_f64 v[48:49], v[110:111], v[48:49]
	v_fmac_f64_e32 v[56:57], v[84:85], v[104:105]
	v_fmac_f64_e32 v[70:71], v[90:91], v[96:97]
	v_add_f64 v[84:85], v[82:83], v[80:81]
	v_add_f64 v[90:91], v[88:89], v[86:87]
	v_fma_f64 v[94:95], v[112:113], v[102:103], -v[94:95]
	v_fma_f64 v[96:97], v[108:109], v[50:51], -v[48:49]
	v_add_f64 v[92:93], v[90:91], v[84:85]
	v_add_f64 v[48:49], v[94:95], v[96:97]
	;; [unrolled: 1-line block ×4, first 2 shown]
	v_mul_f64 v[72:73], v[122:123], v[126:127]
	v_mov_b64_e32 v[98:99], v[50:51]
	v_add_f64 v[54:55], v[84:85], -v[48:49]
	v_mul_f64 v[64:65], v[114:115], v[102:103]
	v_fmac_f64_e32 v[72:73], v[120:121], v[124:125]
	v_fmac_f64_e32 v[98:99], s[26:27], v[92:93]
	v_mul_f64 v[92:93], v[54:55], s[14:15]
	v_add_f64 v[48:49], v[48:49], -v[90:91]
	v_add_f64 v[60:61], v[56:57], -v[58:59]
	v_fmac_f64_e32 v[64:65], v[112:113], v[100:101]
	v_add_f64 v[74:75], v[70:71], -v[72:73]
	v_mul_f64 v[100:101], v[48:49], s[16:17]
	v_fma_f64 v[48:49], s[16:17], v[48:49], v[92:93]
	v_add_f64 v[56:57], v[56:57], v[58:59]
	v_add_f64 v[70:71], v[70:71], v[72:73]
	v_add_f64 v[102:103], v[48:49], v[98:99]
	v_add_f64 v[48:49], v[70:71], v[56:57]
	v_add_f64 v[58:59], v[64:65], v[62:63]
	v_add_f64 v[66:67], v[62:63], -v[64:65]
	v_add_f64 v[62:63], v[58:59], v[48:49]
	v_add_f64 v[48:49], v[52:53], v[62:63]
	v_mov_b64_e32 v[64:65], v[48:49]
	v_add_f64 v[52:53], v[56:57], -v[58:59]
	v_fmac_f64_e32 v[64:65], s[26:27], v[62:63]
	v_mul_f64 v[62:63], v[52:53], s[14:15]
	v_add_f64 v[52:53], v[58:59], -v[70:71]
	v_mul_f64 v[72:73], v[52:53], s[16:17]
	v_fma_f64 v[52:53], s[16:17], v[52:53], v[62:63]
	v_add_f64 v[68:69], v[60:61], -v[66:67]
	v_add_f64 v[76:77], v[66:67], -v[74:75]
	v_add_f64 v[66:67], v[66:67], v[74:75]
	v_add_f64 v[104:105], v[52:53], v[64:65]
	v_add_f64 v[80:81], v[82:83], -v[80:81]
	v_add_f64 v[52:53], v[96:97], -v[94:95]
	;; [unrolled: 1-line block ×3, first 2 shown]
	v_mul_f64 v[76:77], v[76:77], s[18:19]
	v_add_f64 v[66:67], v[66:67], v[60:61]
	v_add_f64 v[82:83], v[80:81], -v[52:53]
	v_add_f64 v[58:59], v[52:53], -v[86:87]
	v_add_f64 v[52:53], v[52:53], v[86:87]
	v_add_f64 v[60:61], v[74:75], -v[60:61]
	v_add_f64 v[74:75], v[90:91], -v[84:85]
	v_add_f64 v[70:71], v[70:71], -v[56:57]
	v_fma_f64 v[78:79], s[28:29], v[68:69], v[76:77]
	v_mul_f64 v[88:89], v[58:59], s[18:19]
	v_add_f64 v[96:97], v[52:53], v[80:81]
	v_mul_f64 v[58:59], v[60:61], s[0:1]
	v_fma_f64 v[56:57], v[70:71], s[20:21], -v[62:63]
	v_add_f64 v[80:81], v[86:87], -v[80:81]
	v_fma_f64 v[62:63], v[74:75], s[12:13], -v[100:101]
	v_fma_f64 v[76:77], v[60:61], s[0:1], -v[76:77]
	v_fma_f64 v[68:69], v[68:69], s[24:25], -v[58:59]
	v_fma_f64 v[58:59], v[74:75], s[20:21], -v[92:93]
	v_add_f64 v[90:91], v[56:57], v[64:65]
	v_mul_f64 v[56:57], v[80:81], s[0:1]
	v_add_f64 v[74:75], v[62:63], v[98:99]
	v_fmac_f64_e32 v[76:77], s[22:23], v[66:67]
	v_fmac_f64_e32 v[78:79], s[22:23], v[66:67]
	v_fma_f64 v[94:95], s[28:29], v[82:83], v[88:89]
	v_fmac_f64_e32 v[68:69], s[22:23], v[66:67]
	v_fma_f64 v[82:83], v[82:83], s[24:25], -v[56:57]
	v_add_f64 v[62:63], v[74:75], -v[76:77]
	v_fma_f64 v[60:61], v[70:71], s[12:13], -v[72:73]
	v_fma_f64 v[70:71], v[80:81], s[0:1], -v[88:89]
	v_add_f64 v[66:67], v[76:77], v[74:75]
	v_mov_b32_e32 v76, 4
	v_accvgpr_read_b32 v77, a141
	v_fmac_f64_e32 v[94:95], s[22:23], v[96:97]
	v_add_f64 v[84:85], v[58:59], v[98:99]
	v_fmac_f64_e32 v[82:83], s[22:23], v[96:97]
	v_add_f64 v[64:65], v[60:61], v[64:65]
	v_fmac_f64_e32 v[70:71], s[22:23], v[96:97]
	v_lshlrev_b32_sdwa v76, v76, v77 dst_sel:DWORD dst_unused:UNUSED_PAD src0_sel:DWORD src1_sel:BYTE_0
	v_add_f64 v[54:55], v[78:79], v[102:103]
	v_add_f64 v[52:53], v[104:105], -v[94:95]
	v_add_f64 v[58:59], v[68:69], v[84:85]
	v_add_f64 v[56:57], v[90:91], -v[82:83]
	;; [unrolled: 2-line block ×3, first 2 shown]
	v_add_f64 v[70:71], v[84:85], -v[68:69]
	v_add_f64 v[68:69], v[82:83], v[90:91]
	v_add_f64 v[74:75], v[102:103], -v[78:79]
	v_add_f64 v[72:73], v[94:95], v[104:105]
	ds_write_b128 v76, v[48:51] offset:17920
	ds_write_b128 v76, v[72:75] offset:18560
	;; [unrolled: 1-line block ×7, first 2 shown]
.LBB0_37:
	s_or_b64 exec, exec, s[30:31]
	v_accvgpr_read_b32 v110, a244
	v_accvgpr_read_b32 v112, a246
	;; [unrolled: 1-line block ×3, first 2 shown]
	s_waitcnt lgkmcnt(0)
	; wave barrier
	s_waitcnt lgkmcnt(0)
	ds_read_b128 v[68:71], v168 offset:4480
	ds_read_b128 v[48:51], v168
	ds_read_b128 v[52:55], v168 offset:896
	ds_read_b128 v[72:75], v168 offset:8960
	;; [unrolled: 1-line block ×12, first 2 shown]
	v_accvgpr_read_b32 v111, a245
	s_waitcnt lgkmcnt(13)
	v_mul_f64 v[146:147], v[112:113], v[70:71]
	v_fmac_f64_e32 v[146:147], v[110:111], v[68:69]
	v_mul_f64 v[68:69], v[112:113], v[68:69]
	v_fma_f64 v[148:149], v[110:111], v[70:71], -v[68:69]
	ds_read_b128 v[68:71], v168 offset:13440
	ds_read_b128 v[134:137], v168 offset:12544
	s_waitcnt lgkmcnt(12)
	v_mul_f64 v[150:151], v[234:235], v[74:75]
	v_fmac_f64_e32 v[150:151], v[232:233], v[72:73]
	v_mul_f64 v[72:73], v[234:235], v[72:73]
	s_waitcnt lgkmcnt(1)
	v_mul_f64 v[154:155], v[226:227], v[70:71]
	v_fmac_f64_e32 v[154:155], v[224:225], v[68:69]
	v_mul_f64 v[68:69], v[226:227], v[68:69]
	v_fma_f64 v[156:157], v[224:225], v[70:71], -v[68:69]
	v_mul_f64 v[158:159], v[222:223], v[88:89]
	v_mul_f64 v[68:69], v[222:223], v[86:87]
	v_fma_f64 v[152:153], v[232:233], v[74:75], -v[72:73]
	v_fmac_f64_e32 v[158:159], v[220:221], v[86:87]
	v_fma_f64 v[160:161], v[220:221], v[88:89], -v[68:69]
	ds_read_b128 v[70:73], v168 offset:10752
	ds_read_b128 v[86:89], v168 offset:11648
	v_mul_f64 v[68:69], v[242:243], v[94:95]
	v_fma_f64 v[122:123], v[240:241], v[96:97], -v[68:69]
	v_mul_f64 v[68:69], v[254:255], v[76:77]
	v_mul_f64 v[132:133], v[254:255], v[78:79]
	v_fma_f64 v[124:125], v[252:253], v[78:79], -v[68:69]
	v_mul_f64 v[68:69], v[246:247], v[102:103]
	v_fmac_f64_e32 v[132:133], v[252:253], v[76:77]
	v_fma_f64 v[126:127], v[244:245], v[104:105], -v[68:69]
	v_mul_f64 v[68:69], v[250:251], v[90:91]
	v_mul_f64 v[76:77], v[6:7], v[100:101]
	;; [unrolled: 1-line block ×5, first 2 shown]
	v_fma_f64 v[128:129], v[248:249], v[92:93], -v[68:69]
	v_fmac_f64_e32 v[76:77], v[4:5], v[98:99]
	v_fma_f64 v[68:69], v[4:5], v[100:101], -v[6:7]
	s_waitcnt lgkmcnt(1)
	v_mul_f64 v[116:117], v[14:15], v[72:73]
	v_mul_f64 v[4:5], v[14:15], v[70:71]
	;; [unrolled: 1-line block ×4, first 2 shown]
	v_fmac_f64_e32 v[130:131], v[240:241], v[94:95]
	ds_read_b128 v[94:97], v168 offset:19712
	ds_read_b128 v[138:141], v168 offset:20608
	v_fmac_f64_e32 v[164:165], v[248:249], v[90:91]
	ds_read_b128 v[90:93], v168 offset:7168
	ds_read_b128 v[142:145], v168 offset:8064
	v_fmac_f64_e32 v[116:117], v[12:13], v[70:71]
	v_fma_f64 v[70:71], v[12:13], v[72:73], -v[4:5]
	ds_read_b128 v[4:7], v168 offset:16128
	ds_read_b128 v[12:15], v168 offset:17024
	v_fmac_f64_e32 v[118:119], v[0:1], v[106:107]
	v_fma_f64 v[72:73], v[0:1], v[108:109], -v[2:3]
	ds_read_b128 v[0:3], v168 offset:21504
	s_waitcnt lgkmcnt(2)
	v_mul_f64 v[112:113], v[22:23], v[6:7]
	v_mul_f64 v[120:121], v[10:11], v[96:97]
	;; [unrolled: 1-line block ×3, first 2 shown]
	v_fmac_f64_e32 v[112:113], v[20:21], v[4:5]
	v_mul_f64 v[4:5], v[22:23], v[4:5]
	s_waitcnt lgkmcnt(0)
	v_mul_f64 v[100:101], v[42:43], v[2:3]
	v_mul_f64 v[162:163], v[246:247], v[104:105]
	v_fmac_f64_e32 v[120:121], v[8:9], v[94:95]
	v_fma_f64 v[74:75], v[8:9], v[96:97], -v[10:11]
	v_mul_f64 v[8:9], v[18:19], v[90:91]
	v_fma_f64 v[106:107], v[20:21], v[6:7], -v[4:5]
	v_mul_f64 v[4:5], v[26:27], v[138:139]
	v_fmac_f64_e32 v[100:101], v[40:41], v[0:1]
	v_mul_f64 v[0:1], v[42:43], v[0:1]
	v_fmac_f64_e32 v[162:163], v[244:245], v[102:103]
	v_mul_f64 v[78:79], v[18:19], v[92:93]
	v_fma_f64 v[102:103], v[16:17], v[92:93], -v[8:9]
	v_mul_f64 v[110:111], v[30:31], v[88:89]
	v_fma_f64 v[108:109], v[24:25], v[140:141], -v[4:5]
	;; [unrolled: 2-line block ×3, first 2 shown]
	v_add_f64 v[0:1], v[48:49], v[146:147]
	v_fmac_f64_e32 v[110:111], v[28:29], v[86:87]
	v_mul_f64 v[8:9], v[30:31], v[86:87]
	v_fma_f64 v[86:87], v[32:33], v[144:145], -v[4:5]
	v_mul_f64 v[4:5], v[46:47], v[134:135]
	v_add_f64 v[0:1], v[0:1], v[150:151]
	v_accvgpr_read_b32 v166, a20
	v_fma_f64 v[104:105], v[28:29], v[88:89], -v[8:9]
	v_fma_f64 v[88:89], v[44:45], v[136:137], -v[4:5]
	v_mul_f64 v[4:5], v[38:39], v[12:13]
	v_add_f64 v[0:1], v[0:1], v[154:155]
	v_mad_u64_u32 v[82:83], s[0:1], s10, v166, 0
	v_fmac_f64_e32 v[78:79], v[16:17], v[90:91]
	v_fma_f64 v[90:91], v[36:37], v[14:15], -v[4:5]
	v_add_f64 v[4:5], v[0:1], v[158:159]
	v_add_f64 v[0:1], v[150:151], v[154:155]
	s_mov_b32 s2, 0x134454ff
	v_mul_f64 v[98:99], v[38:39], v[14:15]
	v_fma_f64 v[0:1], -0.5, v[0:1], v[48:49]
	v_add_f64 v[2:3], v[148:149], -v[160:161]
	s_mov_b32 s3, 0xbfee6f0e
	s_mov_b32 s0, 0x4755a5e
	;; [unrolled: 1-line block ×4, first 2 shown]
	v_mov_b32_e32 v80, s6
	v_mov_b32_e32 v81, s7
	v_fmac_f64_e32 v[98:99], v[36:37], v[12:13]
	v_fma_f64 v[8:9], s[2:3], v[2:3], v[0:1]
	v_add_f64 v[6:7], v[152:153], -v[156:157]
	s_mov_b32 s1, 0xbfe2cf23
	v_add_f64 v[10:11], v[146:147], -v[150:151]
	v_add_f64 v[12:13], v[158:159], -v[154:155]
	s_mov_b32 s6, 0x372fe950
	v_fmac_f64_e32 v[0:1], s[12:13], v[2:3]
	s_mov_b32 s15, 0x3fe2cf23
	s_mov_b32 s14, s0
	v_fmac_f64_e32 v[8:9], s[0:1], v[6:7]
	v_add_f64 v[10:11], v[10:11], v[12:13]
	s_mov_b32 s7, 0x3fd3c6ef
	v_fmac_f64_e32 v[0:1], s[14:15], v[6:7]
	v_fmac_f64_e32 v[8:9], s[6:7], v[10:11]
	v_fmac_f64_e32 v[0:1], s[6:7], v[10:11]
	v_add_f64 v[10:11], v[146:147], v[158:159]
	v_fmac_f64_e32 v[48:49], -0.5, v[10:11]
	v_fma_f64 v[12:13], s[12:13], v[6:7], v[48:49]
	v_fmac_f64_e32 v[48:49], s[2:3], v[6:7]
	v_fmac_f64_e32 v[12:13], s[0:1], v[2:3]
	v_fmac_f64_e32 v[48:49], s[14:15], v[2:3]
	v_add_f64 v[2:3], v[50:51], v[148:149]
	v_add_f64 v[2:3], v[2:3], v[152:153]
	;; [unrolled: 1-line block ×3, first 2 shown]
	v_add_f64 v[10:11], v[150:151], -v[146:147]
	v_add_f64 v[14:15], v[154:155], -v[158:159]
	v_add_f64 v[6:7], v[2:3], v[160:161]
	v_add_f64 v[2:3], v[152:153], v[156:157]
	;; [unrolled: 1-line block ×3, first 2 shown]
	v_fma_f64 v[2:3], -0.5, v[2:3], v[50:51]
	v_add_f64 v[16:17], v[146:147], -v[158:159]
	v_fmac_f64_e32 v[12:13], s[6:7], v[10:11]
	v_fmac_f64_e32 v[48:49], s[6:7], v[10:11]
	v_fma_f64 v[10:11], s[12:13], v[16:17], v[2:3]
	v_add_f64 v[18:19], v[150:151], -v[154:155]
	v_add_f64 v[14:15], v[148:149], -v[152:153]
	;; [unrolled: 1-line block ×3, first 2 shown]
	v_fmac_f64_e32 v[2:3], s[2:3], v[16:17]
	v_fmac_f64_e32 v[10:11], s[14:15], v[18:19]
	v_add_f64 v[14:15], v[14:15], v[20:21]
	v_fmac_f64_e32 v[2:3], s[0:1], v[18:19]
	v_fmac_f64_e32 v[10:11], s[6:7], v[14:15]
	;; [unrolled: 1-line block ×3, first 2 shown]
	v_add_f64 v[14:15], v[148:149], v[160:161]
	v_fmac_f64_e32 v[50:51], -0.5, v[14:15]
	v_fma_f64 v[14:15], s[2:3], v[18:19], v[50:51]
	v_fmac_f64_e32 v[50:51], s[12:13], v[18:19]
	v_fmac_f64_e32 v[14:15], s[14:15], v[16:17]
	v_fmac_f64_e32 v[50:51], s[0:1], v[16:17]
	v_add_f64 v[16:17], v[52:53], v[130:131]
	v_add_f64 v[20:21], v[152:153], -v[148:149]
	v_add_f64 v[22:23], v[156:157], -v[160:161]
	v_add_f64 v[16:17], v[16:17], v[132:133]
	v_add_f64 v[20:21], v[20:21], v[22:23]
	;; [unrolled: 1-line block ×3, first 2 shown]
	v_fmac_f64_e32 v[14:15], s[6:7], v[20:21]
	v_fmac_f64_e32 v[50:51], s[6:7], v[20:21]
	v_add_f64 v[20:21], v[16:17], v[164:165]
	v_add_f64 v[16:17], v[132:133], v[162:163]
	v_mul_f64 v[114:115], v[26:27], v[140:141]
	v_fma_f64 v[16:17], -0.5, v[16:17], v[52:53]
	v_add_f64 v[18:19], v[122:123], -v[128:129]
	v_fmac_f64_e32 v[114:115], v[24:25], v[138:139]
	v_fma_f64 v[24:25], s[2:3], v[18:19], v[16:17]
	v_add_f64 v[22:23], v[124:125], -v[126:127]
	v_add_f64 v[26:27], v[130:131], -v[132:133]
	;; [unrolled: 1-line block ×3, first 2 shown]
	v_fmac_f64_e32 v[16:17], s[12:13], v[18:19]
	v_fmac_f64_e32 v[24:25], s[0:1], v[22:23]
	v_add_f64 v[26:27], v[26:27], v[28:29]
	v_fmac_f64_e32 v[16:17], s[14:15], v[22:23]
	v_fmac_f64_e32 v[24:25], s[6:7], v[26:27]
	;; [unrolled: 1-line block ×3, first 2 shown]
	v_add_f64 v[26:27], v[130:131], v[164:165]
	v_fmac_f64_e32 v[52:53], -0.5, v[26:27]
	v_fma_f64 v[28:29], s[12:13], v[22:23], v[52:53]
	v_fmac_f64_e32 v[52:53], s[2:3], v[22:23]
	v_fmac_f64_e32 v[28:29], s[0:1], v[18:19]
	;; [unrolled: 1-line block ×3, first 2 shown]
	v_add_f64 v[18:19], v[54:55], v[122:123]
	v_add_f64 v[18:19], v[18:19], v[124:125]
	v_add_f64 v[18:19], v[18:19], v[126:127]
	v_mul_f64 v[94:95], v[34:35], v[144:145]
	v_add_f64 v[26:27], v[132:133], -v[130:131]
	v_add_f64 v[30:31], v[162:163], -v[164:165]
	v_add_f64 v[22:23], v[18:19], v[128:129]
	v_add_f64 v[18:19], v[124:125], v[126:127]
	v_fmac_f64_e32 v[94:95], v[32:33], v[142:143]
	v_add_f64 v[26:27], v[26:27], v[30:31]
	v_fma_f64 v[18:19], -0.5, v[18:19], v[54:55]
	v_add_f64 v[32:33], v[130:131], -v[164:165]
	v_fmac_f64_e32 v[28:29], s[6:7], v[26:27]
	v_fmac_f64_e32 v[52:53], s[6:7], v[26:27]
	v_fma_f64 v[26:27], s[12:13], v[32:33], v[18:19]
	v_add_f64 v[34:35], v[132:133], -v[162:163]
	v_add_f64 v[30:31], v[122:123], -v[124:125]
	v_add_f64 v[36:37], v[128:129], -v[126:127]
	v_fmac_f64_e32 v[18:19], s[2:3], v[32:33]
	v_fmac_f64_e32 v[26:27], s[14:15], v[34:35]
	v_add_f64 v[30:31], v[30:31], v[36:37]
	v_fmac_f64_e32 v[18:19], s[0:1], v[34:35]
	v_fmac_f64_e32 v[26:27], s[6:7], v[30:31]
	;; [unrolled: 1-line block ×3, first 2 shown]
	v_add_f64 v[30:31], v[122:123], v[128:129]
	v_fmac_f64_e32 v[54:55], -0.5, v[30:31]
	v_fma_f64 v[30:31], s[2:3], v[34:35], v[54:55]
	v_fmac_f64_e32 v[54:55], s[12:13], v[34:35]
	v_fmac_f64_e32 v[30:31], s[14:15], v[32:33]
	;; [unrolled: 1-line block ×3, first 2 shown]
	v_add_f64 v[32:33], v[60:61], v[76:77]
	v_add_f64 v[36:37], v[124:125], -v[122:123]
	v_add_f64 v[38:39], v[126:127], -v[128:129]
	v_add_f64 v[32:33], v[32:33], v[116:117]
	v_add_f64 v[36:37], v[36:37], v[38:39]
	;; [unrolled: 1-line block ×3, first 2 shown]
	v_fmac_f64_e32 v[30:31], s[6:7], v[36:37]
	v_fmac_f64_e32 v[54:55], s[6:7], v[36:37]
	v_add_f64 v[36:37], v[32:33], v[120:121]
	v_add_f64 v[32:33], v[116:117], v[118:119]
	v_mul_f64 v[96:97], v[46:47], v[136:137]
	v_fma_f64 v[32:33], -0.5, v[32:33], v[60:61]
	v_add_f64 v[34:35], v[68:69], -v[74:75]
	v_fmac_f64_e32 v[96:97], v[44:45], v[134:135]
	v_fma_f64 v[40:41], s[2:3], v[34:35], v[32:33]
	v_add_f64 v[38:39], v[70:71], -v[72:73]
	v_add_f64 v[42:43], v[76:77], -v[116:117]
	;; [unrolled: 1-line block ×3, first 2 shown]
	v_fmac_f64_e32 v[32:33], s[12:13], v[34:35]
	v_fmac_f64_e32 v[40:41], s[0:1], v[38:39]
	v_add_f64 v[42:43], v[42:43], v[44:45]
	v_fmac_f64_e32 v[32:33], s[14:15], v[38:39]
	v_fmac_f64_e32 v[40:41], s[6:7], v[42:43]
	;; [unrolled: 1-line block ×3, first 2 shown]
	v_add_f64 v[42:43], v[76:77], v[120:121]
	v_fmac_f64_e32 v[60:61], -0.5, v[42:43]
	v_fma_f64 v[44:45], s[12:13], v[38:39], v[60:61]
	v_fmac_f64_e32 v[60:61], s[2:3], v[38:39]
	v_fmac_f64_e32 v[44:45], s[0:1], v[34:35]
	;; [unrolled: 1-line block ×3, first 2 shown]
	v_add_f64 v[34:35], v[62:63], v[68:69]
	v_add_f64 v[34:35], v[34:35], v[70:71]
	;; [unrolled: 1-line block ×3, first 2 shown]
	v_add_f64 v[42:43], v[116:117], -v[76:77]
	v_add_f64 v[46:47], v[118:119], -v[120:121]
	v_add_f64 v[38:39], v[34:35], v[74:75]
	v_add_f64 v[34:35], v[70:71], v[72:73]
	;; [unrolled: 1-line block ×3, first 2 shown]
	v_fma_f64 v[34:35], -0.5, v[34:35], v[62:63]
	v_add_f64 v[76:77], v[76:77], -v[120:121]
	v_fmac_f64_e32 v[44:45], s[6:7], v[42:43]
	v_fmac_f64_e32 v[60:61], s[6:7], v[42:43]
	v_fma_f64 v[42:43], s[12:13], v[76:77], v[34:35]
	v_add_f64 v[116:117], v[116:117], -v[118:119]
	v_add_f64 v[46:47], v[68:69], -v[70:71]
	;; [unrolled: 1-line block ×3, first 2 shown]
	v_fmac_f64_e32 v[34:35], s[2:3], v[76:77]
	v_fmac_f64_e32 v[42:43], s[14:15], v[116:117]
	v_add_f64 v[46:47], v[46:47], v[118:119]
	v_fmac_f64_e32 v[34:35], s[0:1], v[116:117]
	v_fmac_f64_e32 v[42:43], s[6:7], v[46:47]
	;; [unrolled: 1-line block ×3, first 2 shown]
	v_add_f64 v[46:47], v[68:69], v[74:75]
	v_fmac_f64_e32 v[62:63], -0.5, v[46:47]
	v_fma_f64 v[46:47], s[2:3], v[116:117], v[62:63]
	v_add_f64 v[68:69], v[70:71], -v[68:69]
	v_add_f64 v[70:71], v[72:73], -v[74:75]
	v_fmac_f64_e32 v[62:63], s[12:13], v[116:117]
	v_fmac_f64_e32 v[46:47], s[14:15], v[76:77]
	v_add_f64 v[68:69], v[68:69], v[70:71]
	v_fmac_f64_e32 v[62:63], s[0:1], v[76:77]
	v_fmac_f64_e32 v[46:47], s[6:7], v[68:69]
	;; [unrolled: 1-line block ×3, first 2 shown]
	v_add_f64 v[68:69], v[56:57], v[78:79]
	v_add_f64 v[68:69], v[68:69], v[110:111]
	;; [unrolled: 1-line block ×5, first 2 shown]
	v_fma_f64 v[68:69], -0.5, v[68:69], v[56:57]
	v_add_f64 v[70:71], v[102:103], -v[108:109]
	v_fma_f64 v[76:77], s[2:3], v[70:71], v[68:69]
	v_add_f64 v[74:75], v[104:105], -v[106:107]
	v_add_f64 v[116:117], v[78:79], -v[110:111]
	;; [unrolled: 1-line block ×3, first 2 shown]
	v_fmac_f64_e32 v[68:69], s[12:13], v[70:71]
	v_fmac_f64_e32 v[76:77], s[0:1], v[74:75]
	v_add_f64 v[116:117], v[116:117], v[118:119]
	v_fmac_f64_e32 v[68:69], s[14:15], v[74:75]
	v_fmac_f64_e32 v[76:77], s[6:7], v[116:117]
	;; [unrolled: 1-line block ×3, first 2 shown]
	v_add_f64 v[116:117], v[78:79], v[114:115]
	v_fmac_f64_e32 v[56:57], -0.5, v[116:117]
	v_fma_f64 v[116:117], s[12:13], v[74:75], v[56:57]
	v_fmac_f64_e32 v[56:57], s[2:3], v[74:75]
	v_fmac_f64_e32 v[116:117], s[0:1], v[70:71]
	;; [unrolled: 1-line block ×3, first 2 shown]
	v_add_f64 v[70:71], v[58:59], v[102:103]
	v_add_f64 v[70:71], v[70:71], v[104:105]
	;; [unrolled: 1-line block ×3, first 2 shown]
	v_add_f64 v[118:119], v[110:111], -v[78:79]
	v_add_f64 v[120:121], v[112:113], -v[114:115]
	v_add_f64 v[74:75], v[70:71], v[108:109]
	v_add_f64 v[70:71], v[104:105], v[106:107]
	;; [unrolled: 1-line block ×3, first 2 shown]
	v_fma_f64 v[70:71], -0.5, v[70:71], v[58:59]
	v_add_f64 v[114:115], v[78:79], -v[114:115]
	v_fmac_f64_e32 v[116:117], s[6:7], v[118:119]
	v_fmac_f64_e32 v[56:57], s[6:7], v[118:119]
	v_fma_f64 v[78:79], s[12:13], v[114:115], v[70:71]
	v_add_f64 v[110:111], v[110:111], -v[112:113]
	v_add_f64 v[112:113], v[102:103], -v[104:105]
	;; [unrolled: 1-line block ×3, first 2 shown]
	v_fmac_f64_e32 v[70:71], s[2:3], v[114:115]
	v_fmac_f64_e32 v[78:79], s[14:15], v[110:111]
	v_add_f64 v[112:113], v[112:113], v[118:119]
	v_fmac_f64_e32 v[70:71], s[0:1], v[110:111]
	v_fmac_f64_e32 v[78:79], s[6:7], v[112:113]
	;; [unrolled: 1-line block ×3, first 2 shown]
	v_add_f64 v[112:113], v[102:103], v[108:109]
	v_add_f64 v[102:103], v[104:105], -v[102:103]
	v_add_f64 v[104:105], v[106:107], -v[108:109]
	v_fmac_f64_e32 v[58:59], -0.5, v[112:113]
	v_add_f64 v[102:103], v[102:103], v[104:105]
	v_add_f64 v[104:105], v[96:97], v[98:99]
	v_fma_f64 v[118:119], s[2:3], v[110:111], v[58:59]
	v_fmac_f64_e32 v[58:59], s[12:13], v[110:111]
	v_fma_f64 v[106:107], -0.5, v[104:105], v[64:65]
	v_add_f64 v[104:105], v[86:87], -v[92:93]
	v_fmac_f64_e32 v[118:119], s[14:15], v[114:115]
	v_fmac_f64_e32 v[58:59], s[0:1], v[114:115]
	v_fma_f64 v[110:111], s[2:3], v[104:105], v[106:107]
	v_add_f64 v[108:109], v[88:89], -v[90:91]
	v_add_f64 v[112:113], v[94:95], -v[96:97]
	v_add_f64 v[114:115], v[100:101], -v[98:99]
	v_fmac_f64_e32 v[106:107], s[12:13], v[104:105]
	v_fmac_f64_e32 v[110:111], s[0:1], v[108:109]
	v_add_f64 v[112:113], v[112:113], v[114:115]
	v_fmac_f64_e32 v[106:107], s[14:15], v[108:109]
	v_fmac_f64_e32 v[110:111], s[6:7], v[112:113]
	;; [unrolled: 1-line block ×3, first 2 shown]
	v_add_f64 v[112:113], v[94:95], v[100:101]
	v_fmac_f64_e32 v[118:119], s[6:7], v[102:103]
	v_fmac_f64_e32 v[58:59], s[6:7], v[102:103]
	v_add_f64 v[102:103], v[64:65], v[94:95]
	v_fmac_f64_e32 v[64:65], -0.5, v[112:113]
	v_add_f64 v[102:103], v[102:103], v[96:97]
	v_fma_f64 v[120:121], s[12:13], v[108:109], v[64:65]
	v_add_f64 v[112:113], v[96:97], -v[94:95]
	v_add_f64 v[114:115], v[98:99], -v[100:101]
	v_fmac_f64_e32 v[64:65], s[2:3], v[108:109]
	v_add_f64 v[108:109], v[88:89], v[90:91]
	v_add_f64 v[102:103], v[102:103], v[98:99]
	v_fmac_f64_e32 v[120:121], s[0:1], v[104:105]
	v_add_f64 v[112:113], v[112:113], v[114:115]
	v_fmac_f64_e32 v[64:65], s[14:15], v[104:105]
	v_fma_f64 v[108:109], -0.5, v[108:109], v[66:67]
	v_add_f64 v[94:95], v[94:95], -v[100:101]
	v_add_f64 v[102:103], v[102:103], v[100:101]
	v_fmac_f64_e32 v[120:121], s[6:7], v[112:113]
	v_fmac_f64_e32 v[64:65], s[6:7], v[112:113]
	v_fma_f64 v[112:113], s[12:13], v[94:95], v[108:109]
	v_add_f64 v[96:97], v[96:97], -v[98:99]
	v_add_f64 v[98:99], v[86:87], -v[88:89]
	;; [unrolled: 1-line block ×3, first 2 shown]
	v_fmac_f64_e32 v[108:109], s[2:3], v[94:95]
	v_fmac_f64_e32 v[112:113], s[14:15], v[96:97]
	v_add_f64 v[98:99], v[98:99], v[100:101]
	v_fmac_f64_e32 v[108:109], s[0:1], v[96:97]
	v_fmac_f64_e32 v[112:113], s[6:7], v[98:99]
	v_fmac_f64_e32 v[108:109], s[6:7], v[98:99]
	v_add_f64 v[98:99], v[86:87], v[92:93]
	v_add_f64 v[104:105], v[66:67], v[86:87]
	v_fmac_f64_e32 v[66:67], -0.5, v[98:99]
	v_add_f64 v[104:105], v[104:105], v[88:89]
	v_fma_f64 v[122:123], s[2:3], v[96:97], v[66:67]
	v_add_f64 v[86:87], v[88:89], -v[86:87]
	v_add_f64 v[88:89], v[90:91], -v[92:93]
	v_fmac_f64_e32 v[66:67], s[12:13], v[96:97]
	v_add_f64 v[104:105], v[104:105], v[90:91]
	v_fmac_f64_e32 v[122:123], s[14:15], v[94:95]
	v_add_f64 v[86:87], v[86:87], v[88:89]
	;; [unrolled: 2-line block ×3, first 2 shown]
	v_fmac_f64_e32 v[122:123], s[6:7], v[86:87]
	v_fmac_f64_e32 v[66:67], s[6:7], v[86:87]
	ds_write_b128 v168, v[4:7]
	ds_write_b128 v168, v[8:11] offset:4480
	ds_write_b128 v168, v[12:15] offset:8960
	;; [unrolled: 1-line block ×24, first 2 shown]
	s_waitcnt lgkmcnt(0)
	; wave barrier
	s_waitcnt lgkmcnt(0)
	ds_read_b128 v[0:3], v168
	v_mov_b32_e32 v84, v83
	v_accvgpr_read_b32 v10, a58
	v_mad_u64_u32 v[4:5], s[0:1], s11, v166, v[84:85]
	v_accvgpr_read_b32 v12, a60
	v_accvgpr_read_b32 v13, a61
	v_mov_b32_e32 v83, v4
	ds_read_b128 v[4:7], v168 offset:896
	v_accvgpr_read_b32 v11, a59
	s_waitcnt lgkmcnt(1)
	v_mul_f64 v[8:9], v[12:13], v[2:3]
	v_fmac_f64_e32 v[8:9], v[10:11], v[0:1]
	s_mov_b32 s0, 0xe434a9b1
	v_mul_f64 v[0:1], v[12:13], v[0:1]
	s_mov_b32 s1, 0x3f4767dc
	v_fma_f64 v[0:1], v[10:11], v[2:3], -v[0:1]
	v_mad_u64_u32 v[2:3], s[2:3], s8, v214, 0
	ds_read_b128 v[12:15], v168 offset:11200
	v_mul_f64 v[10:11], v[0:1], s[0:1]
	v_mov_b32_e32 v0, v3
	v_mad_u64_u32 v[0:1], s[2:3], s9, v214, v[0:1]
	v_mov_b32_e32 v3, v0
	v_lshl_add_u64 v[0:1], v[82:83], 4, v[80:81]
	v_accvgpr_read_b32 v21, a5
	v_mul_f64 v[8:9], v[8:9], s[0:1]
	v_lshl_add_u64 v[2:3], v[2:3], 4, v[0:1]
	v_accvgpr_read_b32 v20, a4
	global_store_dwordx4 v[2:3], v[8:11], off
	ds_read_b128 v[8:11], v168 offset:12096
	v_accvgpr_read_b32 v19, a3
	v_accvgpr_read_b32 v18, a2
	s_waitcnt lgkmcnt(1)
	v_mul_f64 v[16:17], v[20:21], v[14:15]
	s_mul_i32 s2, s9, 0x2bc
	s_mul_hi_u32 s3, s8, 0x2bc
	v_fmac_f64_e32 v[16:17], v[18:19], v[12:13]
	v_mul_f64 v[12:13], v[20:21], v[12:13]
	s_add_i32 s3, s3, s2
	s_mul_i32 s2, s8, 0x2bc
	v_fma_f64 v[12:13], v[18:19], v[14:15], -v[12:13]
	s_lshl_b64 s[10:11], s[2:3], 4
	v_mul_f64 v[16:17], v[16:17], s[0:1]
	v_mul_f64 v[18:19], v[12:13], s[0:1]
	v_lshl_add_u64 v[12:13], v[2:3], 0, s[10:11]
	global_store_dwordx4 v[12:13], v[16:19], off
	v_accvgpr_read_b32 v14, a26
	s_mul_hi_u32 s7, s8, 0xfffffd7c
	v_accvgpr_read_b32 v16, a28
	v_accvgpr_read_b32 v17, a29
	;; [unrolled: 1-line block ×3, first 2 shown]
	v_mul_f64 v[2:3], v[16:17], v[6:7]
	s_mul_i32 s6, s9, 0xfffffd7c
	s_sub_i32 s7, s7, s8
	v_fmac_f64_e32 v[2:3], v[14:15], v[4:5]
	v_mul_f64 v[4:5], v[16:17], v[4:5]
	s_add_i32 s7, s7, s6
	s_mul_i32 s6, s8, 0xfffffd7c
	v_fma_f64 v[4:5], v[14:15], v[6:7], -v[4:5]
	s_lshl_b64 s[12:13], s[6:7], 4
	v_accvgpr_read_b32 v14, a42
	v_mul_f64 v[2:3], v[2:3], s[0:1]
	v_mul_f64 v[4:5], v[4:5], s[0:1]
	v_lshl_add_u64 v[12:13], v[12:13], 0, s[12:13]
	v_accvgpr_read_b32 v16, a44
	v_accvgpr_read_b32 v17, a45
	global_store_dwordx4 v[12:13], v[2:5], off
	v_accvgpr_read_b32 v15, a43
	v_accvgpr_read_b32 v23, a13
	s_waitcnt lgkmcnt(0)
	v_mul_f64 v[2:3], v[16:17], v[10:11]
	v_fmac_f64_e32 v[2:3], v[14:15], v[8:9]
	v_mul_f64 v[4:5], v[16:17], v[8:9]
	ds_read_b128 v[6:9], v168 offset:1792
	v_fma_f64 v[4:5], v[14:15], v[10:11], -v[4:5]
	v_accvgpr_read_b32 v19, a9
	v_mul_f64 v[2:3], v[2:3], s[0:1]
	v_mul_f64 v[4:5], v[4:5], s[0:1]
	v_lshl_add_u64 v[14:15], v[12:13], 0, s[10:11]
	v_accvgpr_read_b32 v18, a8
	global_store_dwordx4 v[14:15], v[2:5], off
	ds_read_b128 v[2:5], v168 offset:2688
	v_accvgpr_read_b32 v17, a7
	v_accvgpr_read_b32 v16, a6
	s_waitcnt lgkmcnt(1)
	v_mul_f64 v[10:11], v[18:19], v[8:9]
	v_fmac_f64_e32 v[10:11], v[16:17], v[6:7]
	v_mul_f64 v[6:7], v[18:19], v[6:7]
	v_fma_f64 v[12:13], v[16:17], v[8:9], -v[6:7]
	ds_read_b128 v[6:9], v168 offset:12992
	v_mul_f64 v[10:11], v[10:11], s[0:1]
	v_mul_f64 v[12:13], v[12:13], s[0:1]
	v_lshl_add_u64 v[18:19], v[14:15], 0, s[12:13]
	v_accvgpr_read_b32 v22, a12
	global_store_dwordx4 v[18:19], v[10:13], off
	ds_read_b128 v[10:13], v168 offset:13888
	v_accvgpr_read_b32 v21, a11
	v_accvgpr_read_b32 v20, a10
	s_waitcnt lgkmcnt(1)
	v_mul_f64 v[14:15], v[22:23], v[8:9]
	v_fmac_f64_e32 v[14:15], v[20:21], v[6:7]
	v_mul_f64 v[6:7], v[22:23], v[6:7]
	v_fma_f64 v[6:7], v[20:21], v[8:9], -v[6:7]
	v_mul_f64 v[14:15], v[14:15], s[0:1]
	v_mul_f64 v[16:17], v[6:7], s[0:1]
	v_lshl_add_u64 v[18:19], v[18:19], 0, s[10:11]
	global_store_dwordx4 v[18:19], v[14:17], off
	v_accvgpr_read_b32 v20, a46
	v_accvgpr_read_b32 v22, a48
	;; [unrolled: 1-line block ×6, first 2 shown]
	v_mul_f64 v[6:7], v[16:17], v[4:5]
	v_fmac_f64_e32 v[6:7], v[14:15], v[2:3]
	v_mul_f64 v[2:3], v[16:17], v[2:3]
	v_fma_f64 v[2:3], v[14:15], v[4:5], -v[2:3]
	v_mul_f64 v[6:7], v[6:7], s[0:1]
	v_mul_f64 v[8:9], v[2:3], s[0:1]
	v_lshl_add_u64 v[14:15], v[18:19], 0, s[12:13]
	global_store_dwordx4 v[14:15], v[6:9], off
	v_accvgpr_read_b32 v19, a17
	v_lshl_add_u64 v[14:15], v[14:15], 0, s[10:11]
	v_accvgpr_read_b32 v6, a70
	v_accvgpr_read_b32 v8, a72
	;; [unrolled: 1-line block ×4, first 2 shown]
	s_waitcnt lgkmcnt(0)
	v_mul_f64 v[2:3], v[8:9], v[12:13]
	v_mul_f64 v[4:5], v[8:9], v[10:11]
	v_fmac_f64_e32 v[2:3], v[6:7], v[10:11]
	v_fma_f64 v[4:5], v[6:7], v[12:13], -v[4:5]
	ds_read_b128 v[6:9], v168 offset:3584
	v_mul_f64 v[2:3], v[2:3], s[0:1]
	v_mul_f64 v[4:5], v[4:5], s[0:1]
	v_accvgpr_read_b32 v18, a16
	global_store_dwordx4 v[14:15], v[2:5], off
	ds_read_b128 v[2:5], v168 offset:4480
	v_accvgpr_read_b32 v17, a15
	v_accvgpr_read_b32 v16, a14
	s_waitcnt lgkmcnt(1)
	v_mul_f64 v[10:11], v[18:19], v[8:9]
	v_fmac_f64_e32 v[10:11], v[16:17], v[6:7]
	v_mul_f64 v[6:7], v[18:19], v[6:7]
	v_fma_f64 v[12:13], v[16:17], v[8:9], -v[6:7]
	ds_read_b128 v[6:9], v168 offset:14784
	v_mul_f64 v[10:11], v[10:11], s[0:1]
	v_mul_f64 v[12:13], v[12:13], s[0:1]
	v_lshl_add_u64 v[18:19], v[14:15], 0, s[12:13]
	v_accvgpr_read_b32 v23, a49
	global_store_dwordx4 v[18:19], v[10:13], off
	ds_read_b128 v[10:13], v168 offset:15680
	v_accvgpr_read_b32 v21, a47
	s_waitcnt lgkmcnt(1)
	v_mul_f64 v[14:15], v[22:23], v[8:9]
	v_fmac_f64_e32 v[14:15], v[20:21], v[6:7]
	v_mul_f64 v[6:7], v[22:23], v[6:7]
	v_fma_f64 v[6:7], v[20:21], v[8:9], -v[6:7]
	v_mul_f64 v[14:15], v[14:15], s[0:1]
	v_mul_f64 v[16:17], v[6:7], s[0:1]
	v_lshl_add_u64 v[18:19], v[18:19], 0, s[10:11]
	global_store_dwordx4 v[18:19], v[14:17], off
	v_accvgpr_read_b32 v20, a94
	v_accvgpr_read_b32 v22, a96
	;; [unrolled: 1-line block ×6, first 2 shown]
	v_mul_f64 v[6:7], v[16:17], v[4:5]
	v_fmac_f64_e32 v[6:7], v[14:15], v[2:3]
	v_mul_f64 v[2:3], v[16:17], v[2:3]
	v_fma_f64 v[2:3], v[14:15], v[4:5], -v[2:3]
	v_mul_f64 v[6:7], v[6:7], s[0:1]
	v_mul_f64 v[8:9], v[2:3], s[0:1]
	v_lshl_add_u64 v[14:15], v[18:19], 0, s[12:13]
	global_store_dwordx4 v[14:15], v[6:9], off
	v_accvgpr_read_b32 v16, a54
	v_lshl_add_u64 v[14:15], v[14:15], 0, s[10:11]
	v_accvgpr_read_b32 v6, a82
	v_accvgpr_read_b32 v8, a84
	;; [unrolled: 1-line block ×4, first 2 shown]
	s_waitcnt lgkmcnt(0)
	v_mul_f64 v[2:3], v[8:9], v[12:13]
	v_mul_f64 v[4:5], v[8:9], v[10:11]
	v_fmac_f64_e32 v[2:3], v[6:7], v[10:11]
	v_fma_f64 v[4:5], v[6:7], v[12:13], -v[4:5]
	ds_read_b128 v[6:9], v168 offset:5376
	v_mul_f64 v[2:3], v[2:3], s[0:1]
	v_mul_f64 v[4:5], v[4:5], s[0:1]
	v_accvgpr_read_b32 v18, a56
	v_accvgpr_read_b32 v19, a57
	global_store_dwordx4 v[14:15], v[2:5], off
	ds_read_b128 v[2:5], v168 offset:6272
	v_accvgpr_read_b32 v17, a55
	s_waitcnt lgkmcnt(1)
	v_mul_f64 v[10:11], v[18:19], v[8:9]
	v_fmac_f64_e32 v[10:11], v[16:17], v[6:7]
	v_mul_f64 v[6:7], v[18:19], v[6:7]
	v_fma_f64 v[12:13], v[16:17], v[8:9], -v[6:7]
	ds_read_b128 v[6:9], v168 offset:16576
	v_mul_f64 v[10:11], v[10:11], s[0:1]
	v_mul_f64 v[12:13], v[12:13], s[0:1]
	v_lshl_add_u64 v[18:19], v[14:15], 0, s[12:13]
	v_accvgpr_read_b32 v23, a97
	global_store_dwordx4 v[18:19], v[10:13], off
	ds_read_b128 v[10:13], v168 offset:17472
	v_accvgpr_read_b32 v21, a95
	s_waitcnt lgkmcnt(1)
	v_mul_f64 v[14:15], v[22:23], v[8:9]
	v_fmac_f64_e32 v[14:15], v[20:21], v[6:7]
	v_mul_f64 v[6:7], v[22:23], v[6:7]
	v_fma_f64 v[6:7], v[20:21], v[8:9], -v[6:7]
	v_mul_f64 v[14:15], v[14:15], s[0:1]
	v_mul_f64 v[16:17], v[6:7], s[0:1]
	v_lshl_add_u64 v[18:19], v[18:19], 0, s[10:11]
	global_store_dwordx4 v[18:19], v[14:17], off
	v_accvgpr_read_b32 v20, a38
	v_accvgpr_read_b32 v22, a40
	;; [unrolled: 1-line block ×6, first 2 shown]
	v_mul_f64 v[6:7], v[16:17], v[4:5]
	v_fmac_f64_e32 v[6:7], v[14:15], v[2:3]
	v_mul_f64 v[2:3], v[16:17], v[2:3]
	v_fma_f64 v[2:3], v[14:15], v[4:5], -v[2:3]
	v_mul_f64 v[6:7], v[6:7], s[0:1]
	v_mul_f64 v[8:9], v[2:3], s[0:1]
	v_lshl_add_u64 v[14:15], v[18:19], 0, s[12:13]
	global_store_dwordx4 v[14:15], v[6:9], off
	v_lshl_add_u64 v[18:19], v[14:15], 0, s[10:11]
	v_accvgpr_read_b32 v23, a41
	v_accvgpr_read_b32 v6, a86
	;; [unrolled: 1-line block ×5, first 2 shown]
	s_waitcnt lgkmcnt(0)
	v_mul_f64 v[2:3], v[8:9], v[12:13]
	v_mul_f64 v[4:5], v[8:9], v[10:11]
	v_fmac_f64_e32 v[2:3], v[6:7], v[10:11]
	v_fma_f64 v[4:5], v[6:7], v[12:13], -v[4:5]
	ds_read_b128 v[6:9], v168 offset:7168
	v_accvgpr_read_b32 v12, a50
	v_mul_f64 v[2:3], v[2:3], s[0:1]
	v_mul_f64 v[4:5], v[4:5], s[0:1]
	v_accvgpr_read_b32 v14, a52
	v_accvgpr_read_b32 v15, a53
	global_store_dwordx4 v[18:19], v[2:5], off
	ds_read_b128 v[2:5], v168 offset:8064
	v_accvgpr_read_b32 v13, a51
	s_waitcnt lgkmcnt(1)
	v_mul_f64 v[10:11], v[14:15], v[8:9]
	v_fmac_f64_e32 v[10:11], v[12:13], v[6:7]
	v_mul_f64 v[6:7], v[14:15], v[6:7]
	v_fma_f64 v[6:7], v[12:13], v[8:9], -v[6:7]
	v_mul_f64 v[12:13], v[6:7], s[0:1]
	scratch_load_dword v7, off, off         ; 4-byte Folded Reload
	v_mul_f64 v[10:11], v[10:11], s[0:1]
	v_accvgpr_read_b32 v21, a39
	s_waitcnt vmcnt(0)
	v_mad_u64_u32 v[14:15], s[14:15], s8, v7, 0
	v_mov_b32_e32 v6, v15
	v_mad_u64_u32 v[16:17], s[14:15], s9, v7, v[6:7]
	ds_read_b128 v[6:9], v168 offset:18368
	v_mov_b32_e32 v15, v16
	v_lshl_add_u64 v[0:1], v[14:15], 4, v[0:1]
	global_store_dwordx4 v[0:1], v[10:13], off
	ds_read_b128 v[10:13], v168 offset:19264
	s_waitcnt lgkmcnt(1)
	v_mul_f64 v[0:1], v[22:23], v[8:9]
	v_fmac_f64_e32 v[0:1], v[20:21], v[6:7]
	v_mul_f64 v[14:15], v[0:1], s[0:1]
	v_mul_f64 v[0:1], v[22:23], v[6:7]
	v_fma_f64 v[0:1], v[20:21], v[8:9], -v[0:1]
	v_mul_f64 v[16:17], v[0:1], s[0:1]
	v_mov_b32_e32 v0, 0x380
	v_mad_u64_u32 v[6:7], s[14:15], s8, v0, v[18:19]
	s_mul_i32 s8, s9, 0x380
	v_add_u32_e32 v7, s8, v7
	global_store_dwordx4 v[6:7], v[14:17], off
	v_lshl_add_u64 v[8:9], v[6:7], 0, s[12:13]
	v_accvgpr_read_b32 v18, a30
	v_accvgpr_read_b32 v14, a66
	;; [unrolled: 1-line block ×5, first 2 shown]
	v_mul_f64 v[0:1], v[16:17], v[4:5]
	v_fmac_f64_e32 v[0:1], v[14:15], v[2:3]
	v_mul_f64 v[2:3], v[16:17], v[2:3]
	v_fma_f64 v[2:3], v[14:15], v[4:5], -v[2:3]
	v_accvgpr_read_b32 v4, a74
	v_mul_f64 v[0:1], v[0:1], s[0:1]
	v_mul_f64 v[2:3], v[2:3], s[0:1]
	v_accvgpr_read_b32 v6, a76
	v_accvgpr_read_b32 v7, a77
	global_store_dwordx4 v[8:9], v[0:3], off
	v_accvgpr_read_b32 v5, a75
	v_accvgpr_read_b32 v14, a34
	s_waitcnt lgkmcnt(0)
	v_mul_f64 v[0:1], v[6:7], v[12:13]
	v_mul_f64 v[2:3], v[6:7], v[10:11]
	v_fmac_f64_e32 v[0:1], v[4:5], v[10:11]
	v_fma_f64 v[2:3], v[4:5], v[12:13], -v[2:3]
	ds_read_b128 v[4:7], v168 offset:8960
	v_mul_f64 v[0:1], v[0:1], s[0:1]
	v_mul_f64 v[2:3], v[2:3], s[0:1]
	v_lshl_add_u64 v[12:13], v[8:9], 0, s[10:11]
	v_accvgpr_read_b32 v16, a36
	v_accvgpr_read_b32 v17, a37
	global_store_dwordx4 v[12:13], v[0:3], off
	ds_read_b128 v[0:3], v168 offset:9856
	v_accvgpr_read_b32 v15, a35
	s_waitcnt lgkmcnt(1)
	v_mul_f64 v[8:9], v[16:17], v[6:7]
	v_fmac_f64_e32 v[8:9], v[14:15], v[4:5]
	v_mul_f64 v[4:5], v[16:17], v[4:5]
	v_fma_f64 v[10:11], v[14:15], v[6:7], -v[4:5]
	ds_read_b128 v[4:7], v168 offset:20160
	v_mul_f64 v[8:9], v[8:9], s[0:1]
	v_mul_f64 v[10:11], v[10:11], s[0:1]
	v_lshl_add_u64 v[16:17], v[12:13], 0, s[12:13]
	v_accvgpr_read_b32 v20, a32
	v_accvgpr_read_b32 v21, a33
	global_store_dwordx4 v[16:17], v[8:11], off
	ds_read_b128 v[8:11], v168 offset:21056
	v_accvgpr_read_b32 v19, a31
	s_waitcnt lgkmcnt(1)
	v_mul_f64 v[12:13], v[20:21], v[6:7]
	v_fmac_f64_e32 v[12:13], v[18:19], v[4:5]
	v_mul_f64 v[4:5], v[20:21], v[4:5]
	v_fma_f64 v[4:5], v[18:19], v[6:7], -v[4:5]
	v_mul_f64 v[12:13], v[12:13], s[0:1]
	v_mul_f64 v[14:15], v[4:5], s[0:1]
	v_lshl_add_u64 v[16:17], v[16:17], 0, s[10:11]
	global_store_dwordx4 v[16:17], v[12:15], off
	s_nop 1
	v_accvgpr_read_b32 v12, a62
	v_accvgpr_read_b32 v14, a64
	;; [unrolled: 1-line block ×4, first 2 shown]
	v_mul_f64 v[4:5], v[14:15], v[2:3]
	v_fmac_f64_e32 v[4:5], v[12:13], v[0:1]
	v_mul_f64 v[0:1], v[14:15], v[0:1]
	v_fma_f64 v[0:1], v[12:13], v[2:3], -v[0:1]
	v_accvgpr_read_b32 v12, a78
	v_mul_f64 v[4:5], v[4:5], s[0:1]
	v_mul_f64 v[6:7], v[0:1], s[0:1]
	v_lshl_add_u64 v[0:1], v[16:17], 0, s[12:13]
	v_accvgpr_read_b32 v14, a80
	v_accvgpr_read_b32 v15, a81
	global_store_dwordx4 v[0:1], v[4:7], off
	v_accvgpr_read_b32 v13, a79
	s_waitcnt lgkmcnt(0)
	v_mul_f64 v[2:3], v[14:15], v[10:11]
	v_mul_f64 v[4:5], v[14:15], v[8:9]
	v_fmac_f64_e32 v[2:3], v[12:13], v[8:9]
	v_fma_f64 v[4:5], v[12:13], v[10:11], -v[4:5]
	v_mul_f64 v[2:3], v[2:3], s[0:1]
	v_mul_f64 v[4:5], v[4:5], s[0:1]
	v_lshl_add_u64 v[0:1], v[0:1], 0, s[10:11]
	global_store_dwordx4 v[0:1], v[2:5], off
	s_and_b64 exec, exec, s[4:5]
	s_cbranch_execz .LBB0_39
; %bb.38:
	v_accvgpr_read_b32 v17, a1
	v_accvgpr_read_b32 v16, a0
	v_add_co_u32_e32 v2, vcc, 0x2000, v16
	v_lshl_add_u64 v[14:15], s[6:7], 4, v[0:1]
	s_nop 0
	v_addc_co_u32_e32 v3, vcc, 0, v17, vcc
	global_load_dwordx4 v[2:5], v[2:3], off offset:2560
	ds_read_b128 v[6:9], v168 offset:10752
	ds_read_b128 v[10:13], v168 offset:21952
	s_movk_i32 s4, 0x5000
	v_add_co_u32_e32 v16, vcc, s4, v16
	s_waitcnt vmcnt(0) lgkmcnt(1)
	v_mul_f64 v[0:1], v[8:9], v[4:5]
	v_mul_f64 v[4:5], v[6:7], v[4:5]
	v_fmac_f64_e32 v[0:1], v[6:7], v[2:3]
	v_fma_f64 v[2:3], v[2:3], v[8:9], -v[4:5]
	v_mul_f64 v[0:1], v[0:1], s[0:1]
	v_mul_f64 v[2:3], v[2:3], s[0:1]
	v_addc_co_u32_e32 v17, vcc, 0, v17, vcc
	global_store_dwordx4 v[14:15], v[0:3], off
	global_load_dwordx4 v[0:3], v[16:17], off offset:1472
	s_waitcnt vmcnt(0) lgkmcnt(0)
	v_mul_f64 v[4:5], v[12:13], v[2:3]
	v_mul_f64 v[2:3], v[10:11], v[2:3]
	v_fmac_f64_e32 v[4:5], v[10:11], v[0:1]
	v_fma_f64 v[2:3], v[0:1], v[12:13], -v[2:3]
	v_mul_f64 v[0:1], v[4:5], s[0:1]
	v_mul_f64 v[2:3], v[2:3], s[0:1]
	v_lshl_add_u64 v[4:5], s[2:3], 4, v[14:15]
	global_store_dwordx4 v[4:5], v[0:3], off
.LBB0_39:
	s_endpgm
	.section	.rodata,"a",@progbits
	.p2align	6, 0x0
	.amdhsa_kernel bluestein_single_back_len1400_dim1_dp_op_CI_CI
		.amdhsa_group_segment_fixed_size 22400
		.amdhsa_private_segment_fixed_size 8
		.amdhsa_kernarg_size 104
		.amdhsa_user_sgpr_count 2
		.amdhsa_user_sgpr_dispatch_ptr 0
		.amdhsa_user_sgpr_queue_ptr 0
		.amdhsa_user_sgpr_kernarg_segment_ptr 1
		.amdhsa_user_sgpr_dispatch_id 0
		.amdhsa_user_sgpr_kernarg_preload_length 0
		.amdhsa_user_sgpr_kernarg_preload_offset 0
		.amdhsa_user_sgpr_private_segment_size 0
		.amdhsa_uses_dynamic_stack 0
		.amdhsa_enable_private_segment 1
		.amdhsa_system_sgpr_workgroup_id_x 1
		.amdhsa_system_sgpr_workgroup_id_y 0
		.amdhsa_system_sgpr_workgroup_id_z 0
		.amdhsa_system_sgpr_workgroup_info 0
		.amdhsa_system_vgpr_workitem_id 0
		.amdhsa_next_free_vgpr 512
		.amdhsa_next_free_sgpr 36
		.amdhsa_accum_offset 256
		.amdhsa_reserve_vcc 1
		.amdhsa_float_round_mode_32 0
		.amdhsa_float_round_mode_16_64 0
		.amdhsa_float_denorm_mode_32 3
		.amdhsa_float_denorm_mode_16_64 3
		.amdhsa_dx10_clamp 1
		.amdhsa_ieee_mode 1
		.amdhsa_fp16_overflow 0
		.amdhsa_tg_split 0
		.amdhsa_exception_fp_ieee_invalid_op 0
		.amdhsa_exception_fp_denorm_src 0
		.amdhsa_exception_fp_ieee_div_zero 0
		.amdhsa_exception_fp_ieee_overflow 0
		.amdhsa_exception_fp_ieee_underflow 0
		.amdhsa_exception_fp_ieee_inexact 0
		.amdhsa_exception_int_div_zero 0
	.end_amdhsa_kernel
	.text
.Lfunc_end0:
	.size	bluestein_single_back_len1400_dim1_dp_op_CI_CI, .Lfunc_end0-bluestein_single_back_len1400_dim1_dp_op_CI_CI
                                        ; -- End function
	.section	.AMDGPU.csdata,"",@progbits
; Kernel info:
; codeLenInByte = 37320
; NumSgprs: 42
; NumVgprs: 256
; NumAgprs: 256
; TotalNumVgprs: 512
; ScratchSize: 8
; MemoryBound: 0
; FloatMode: 240
; IeeeMode: 1
; LDSByteSize: 22400 bytes/workgroup (compile time only)
; SGPRBlocks: 5
; VGPRBlocks: 63
; NumSGPRsForWavesPerEU: 42
; NumVGPRsForWavesPerEU: 512
; AccumOffset: 256
; Occupancy: 1
; WaveLimiterHint : 1
; COMPUTE_PGM_RSRC2:SCRATCH_EN: 1
; COMPUTE_PGM_RSRC2:USER_SGPR: 2
; COMPUTE_PGM_RSRC2:TRAP_HANDLER: 0
; COMPUTE_PGM_RSRC2:TGID_X_EN: 1
; COMPUTE_PGM_RSRC2:TGID_Y_EN: 0
; COMPUTE_PGM_RSRC2:TGID_Z_EN: 0
; COMPUTE_PGM_RSRC2:TIDIG_COMP_CNT: 0
; COMPUTE_PGM_RSRC3_GFX90A:ACCUM_OFFSET: 63
; COMPUTE_PGM_RSRC3_GFX90A:TG_SPLIT: 0
	.text
	.p2alignl 6, 3212836864
	.fill 256, 4, 3212836864
	.type	__hip_cuid_94a1e912557c6d3b,@object ; @__hip_cuid_94a1e912557c6d3b
	.section	.bss,"aw",@nobits
	.globl	__hip_cuid_94a1e912557c6d3b
__hip_cuid_94a1e912557c6d3b:
	.byte	0                               ; 0x0
	.size	__hip_cuid_94a1e912557c6d3b, 1

	.ident	"AMD clang version 19.0.0git (https://github.com/RadeonOpenCompute/llvm-project roc-6.4.0 25133 c7fe45cf4b819c5991fe208aaa96edf142730f1d)"
	.section	".note.GNU-stack","",@progbits
	.addrsig
	.addrsig_sym __hip_cuid_94a1e912557c6d3b
	.amdgpu_metadata
---
amdhsa.kernels:
  - .agpr_count:     256
    .args:
      - .actual_access:  read_only
        .address_space:  global
        .offset:         0
        .size:           8
        .value_kind:     global_buffer
      - .actual_access:  read_only
        .address_space:  global
        .offset:         8
        .size:           8
        .value_kind:     global_buffer
      - .actual_access:  read_only
        .address_space:  global
        .offset:         16
        .size:           8
        .value_kind:     global_buffer
      - .actual_access:  read_only
        .address_space:  global
        .offset:         24
        .size:           8
        .value_kind:     global_buffer
      - .actual_access:  read_only
        .address_space:  global
        .offset:         32
        .size:           8
        .value_kind:     global_buffer
      - .offset:         40
        .size:           8
        .value_kind:     by_value
      - .address_space:  global
        .offset:         48
        .size:           8
        .value_kind:     global_buffer
      - .address_space:  global
        .offset:         56
        .size:           8
        .value_kind:     global_buffer
      - .address_space:  global
        .offset:         64
        .size:           8
        .value_kind:     global_buffer
      - .address_space:  global
        .offset:         72
        .size:           8
        .value_kind:     global_buffer
      - .offset:         80
        .size:           4
        .value_kind:     by_value
      - .address_space:  global
        .offset:         88
        .size:           8
        .value_kind:     global_buffer
      - .address_space:  global
        .offset:         96
        .size:           8
        .value_kind:     global_buffer
    .group_segment_fixed_size: 22400
    .kernarg_segment_align: 8
    .kernarg_segment_size: 104
    .language:       OpenCL C
    .language_version:
      - 2
      - 0
    .max_flat_workgroup_size: 56
    .name:           bluestein_single_back_len1400_dim1_dp_op_CI_CI
    .private_segment_fixed_size: 8
    .sgpr_count:     42
    .sgpr_spill_count: 0
    .symbol:         bluestein_single_back_len1400_dim1_dp_op_CI_CI.kd
    .uniform_work_group_size: 1
    .uses_dynamic_stack: false
    .vgpr_count:     512
    .vgpr_spill_count: 1
    .wavefront_size: 64
amdhsa.target:   amdgcn-amd-amdhsa--gfx950
amdhsa.version:
  - 1
  - 2
...

	.end_amdgpu_metadata
